;; amdgpu-corpus repo=ROCm/rocFFT kind=compiled arch=gfx1030 opt=O3
	.text
	.amdgcn_target "amdgcn-amd-amdhsa--gfx1030"
	.amdhsa_code_object_version 6
	.protected	fft_rtc_back_len224_factors_7_2_2_2_2_2_wgs_64_tpt_16_halfLds_dp_op_CI_CI_unitstride_sbrr_R2C_dirReg ; -- Begin function fft_rtc_back_len224_factors_7_2_2_2_2_2_wgs_64_tpt_16_halfLds_dp_op_CI_CI_unitstride_sbrr_R2C_dirReg
	.globl	fft_rtc_back_len224_factors_7_2_2_2_2_2_wgs_64_tpt_16_halfLds_dp_op_CI_CI_unitstride_sbrr_R2C_dirReg
	.p2align	8
	.type	fft_rtc_back_len224_factors_7_2_2_2_2_2_wgs_64_tpt_16_halfLds_dp_op_CI_CI_unitstride_sbrr_R2C_dirReg,@function
fft_rtc_back_len224_factors_7_2_2_2_2_2_wgs_64_tpt_16_halfLds_dp_op_CI_CI_unitstride_sbrr_R2C_dirReg: ; @fft_rtc_back_len224_factors_7_2_2_2_2_2_wgs_64_tpt_16_halfLds_dp_op_CI_CI_unitstride_sbrr_R2C_dirReg
; %bb.0:
	s_clause 0x2
	s_load_dwordx4 s[12:15], s[4:5], 0x0
	s_load_dwordx4 s[8:11], s[4:5], 0x58
	;; [unrolled: 1-line block ×3, first 2 shown]
	v_lshrrev_b32_e32 v22, 4, v0
	v_mov_b32_e32 v3, 0
	v_mov_b32_e32 v1, 0
	;; [unrolled: 1-line block ×3, first 2 shown]
	v_lshl_or_b32 v5, s6, 2, v22
	v_mov_b32_e32 v6, v3
	s_waitcnt lgkmcnt(0)
	v_cmp_lt_u64_e64 s0, s[14:15], 2
	s_and_b32 vcc_lo, exec_lo, s0
	s_cbranch_vccnz .LBB0_8
; %bb.1:
	s_load_dwordx2 s[0:1], s[4:5], 0x10
	v_mov_b32_e32 v1, 0
	v_mov_b32_e32 v2, 0
	s_add_u32 s2, s18, 8
	s_addc_u32 s3, s19, 0
	s_add_u32 s6, s16, 8
	s_addc_u32 s7, s17, 0
	v_mov_b32_e32 v9, v2
	v_mov_b32_e32 v8, v1
	s_mov_b64 s[22:23], 1
	s_waitcnt lgkmcnt(0)
	s_add_u32 s20, s0, 8
	s_addc_u32 s21, s1, 0
.LBB0_2:                                ; =>This Inner Loop Header: Depth=1
	s_load_dwordx2 s[24:25], s[20:21], 0x0
                                        ; implicit-def: $vgpr12_vgpr13
	s_mov_b32 s0, exec_lo
	s_waitcnt lgkmcnt(0)
	v_or_b32_e32 v4, s25, v6
	v_cmpx_ne_u64_e32 0, v[3:4]
	s_xor_b32 s1, exec_lo, s0
	s_cbranch_execz .LBB0_4
; %bb.3:                                ;   in Loop: Header=BB0_2 Depth=1
	v_cvt_f32_u32_e32 v4, s24
	v_cvt_f32_u32_e32 v7, s25
	s_sub_u32 s0, 0, s24
	s_subb_u32 s26, 0, s25
	v_fmac_f32_e32 v4, 0x4f800000, v7
	v_rcp_f32_e32 v4, v4
	v_mul_f32_e32 v4, 0x5f7ffffc, v4
	v_mul_f32_e32 v7, 0x2f800000, v4
	v_trunc_f32_e32 v7, v7
	v_fmac_f32_e32 v4, 0xcf800000, v7
	v_cvt_u32_f32_e32 v7, v7
	v_cvt_u32_f32_e32 v4, v4
	v_mul_lo_u32 v10, s0, v7
	v_mul_hi_u32 v11, s0, v4
	v_mul_lo_u32 v12, s26, v4
	v_add_nc_u32_e32 v10, v11, v10
	v_mul_lo_u32 v11, s0, v4
	v_add_nc_u32_e32 v10, v10, v12
	v_mul_hi_u32 v12, v4, v11
	v_mul_lo_u32 v13, v4, v10
	v_mul_hi_u32 v14, v4, v10
	v_mul_hi_u32 v15, v7, v11
	v_mul_lo_u32 v11, v7, v11
	v_mul_hi_u32 v16, v7, v10
	v_mul_lo_u32 v10, v7, v10
	v_add_co_u32 v12, vcc_lo, v12, v13
	v_add_co_ci_u32_e32 v13, vcc_lo, 0, v14, vcc_lo
	v_add_co_u32 v11, vcc_lo, v12, v11
	v_add_co_ci_u32_e32 v11, vcc_lo, v13, v15, vcc_lo
	v_add_co_ci_u32_e32 v12, vcc_lo, 0, v16, vcc_lo
	v_add_co_u32 v10, vcc_lo, v11, v10
	v_add_co_ci_u32_e32 v11, vcc_lo, 0, v12, vcc_lo
	v_add_co_u32 v4, vcc_lo, v4, v10
	v_add_co_ci_u32_e32 v7, vcc_lo, v7, v11, vcc_lo
	v_mul_hi_u32 v10, s0, v4
	v_mul_lo_u32 v12, s26, v4
	v_mul_lo_u32 v11, s0, v7
	v_add_nc_u32_e32 v10, v10, v11
	v_mul_lo_u32 v11, s0, v4
	v_add_nc_u32_e32 v10, v10, v12
	v_mul_hi_u32 v12, v4, v11
	v_mul_lo_u32 v13, v4, v10
	v_mul_hi_u32 v14, v4, v10
	v_mul_hi_u32 v15, v7, v11
	v_mul_lo_u32 v11, v7, v11
	v_mul_hi_u32 v16, v7, v10
	v_mul_lo_u32 v10, v7, v10
	v_add_co_u32 v12, vcc_lo, v12, v13
	v_add_co_ci_u32_e32 v13, vcc_lo, 0, v14, vcc_lo
	v_add_co_u32 v11, vcc_lo, v12, v11
	v_add_co_ci_u32_e32 v11, vcc_lo, v13, v15, vcc_lo
	v_add_co_ci_u32_e32 v12, vcc_lo, 0, v16, vcc_lo
	v_add_co_u32 v10, vcc_lo, v11, v10
	v_add_co_ci_u32_e32 v11, vcc_lo, 0, v12, vcc_lo
	v_add_co_u32 v4, vcc_lo, v4, v10
	v_add_co_ci_u32_e32 v7, vcc_lo, v7, v11, vcc_lo
	v_mul_hi_u32 v16, v5, v4
	v_mad_u64_u32 v[12:13], null, v6, v4, 0
	v_mad_u64_u32 v[10:11], null, v5, v7, 0
	;; [unrolled: 1-line block ×3, first 2 shown]
	v_add_co_u32 v4, vcc_lo, v16, v10
	v_add_co_ci_u32_e32 v7, vcc_lo, 0, v11, vcc_lo
	v_add_co_u32 v4, vcc_lo, v4, v12
	v_add_co_ci_u32_e32 v4, vcc_lo, v7, v13, vcc_lo
	v_add_co_ci_u32_e32 v7, vcc_lo, 0, v15, vcc_lo
	v_add_co_u32 v4, vcc_lo, v4, v14
	v_add_co_ci_u32_e32 v7, vcc_lo, 0, v7, vcc_lo
	v_mul_lo_u32 v12, s25, v4
	v_mad_u64_u32 v[10:11], null, s24, v4, 0
	v_mul_lo_u32 v13, s24, v7
	v_sub_co_u32 v10, vcc_lo, v5, v10
	v_add3_u32 v11, v11, v13, v12
	v_sub_nc_u32_e32 v12, v6, v11
	v_subrev_co_ci_u32_e64 v12, s0, s25, v12, vcc_lo
	v_add_co_u32 v13, s0, v4, 2
	v_add_co_ci_u32_e64 v14, s0, 0, v7, s0
	v_sub_co_u32 v15, s0, v10, s24
	v_sub_co_ci_u32_e32 v11, vcc_lo, v6, v11, vcc_lo
	v_subrev_co_ci_u32_e64 v12, s0, 0, v12, s0
	v_cmp_le_u32_e32 vcc_lo, s24, v15
	v_cmp_eq_u32_e64 s0, s25, v11
	v_cndmask_b32_e64 v15, 0, -1, vcc_lo
	v_cmp_le_u32_e32 vcc_lo, s25, v12
	v_cndmask_b32_e64 v16, 0, -1, vcc_lo
	v_cmp_le_u32_e32 vcc_lo, s24, v10
	;; [unrolled: 2-line block ×3, first 2 shown]
	v_cndmask_b32_e64 v17, 0, -1, vcc_lo
	v_cmp_eq_u32_e32 vcc_lo, s25, v12
	v_cndmask_b32_e64 v10, v17, v10, s0
	v_cndmask_b32_e32 v12, v16, v15, vcc_lo
	v_add_co_u32 v15, vcc_lo, v4, 1
	v_add_co_ci_u32_e32 v16, vcc_lo, 0, v7, vcc_lo
	v_cmp_ne_u32_e32 vcc_lo, 0, v12
	v_cndmask_b32_e32 v11, v16, v14, vcc_lo
	v_cndmask_b32_e32 v12, v15, v13, vcc_lo
	v_cmp_ne_u32_e32 vcc_lo, 0, v10
	v_cndmask_b32_e32 v13, v7, v11, vcc_lo
	v_cndmask_b32_e32 v12, v4, v12, vcc_lo
.LBB0_4:                                ;   in Loop: Header=BB0_2 Depth=1
	s_andn2_saveexec_b32 s0, s1
	s_cbranch_execz .LBB0_6
; %bb.5:                                ;   in Loop: Header=BB0_2 Depth=1
	v_cvt_f32_u32_e32 v4, s24
	s_sub_i32 s1, 0, s24
	v_mov_b32_e32 v13, v3
	v_rcp_iflag_f32_e32 v4, v4
	v_mul_f32_e32 v4, 0x4f7ffffe, v4
	v_cvt_u32_f32_e32 v4, v4
	v_mul_lo_u32 v7, s1, v4
	v_mul_hi_u32 v7, v4, v7
	v_add_nc_u32_e32 v4, v4, v7
	v_mul_hi_u32 v4, v5, v4
	v_mul_lo_u32 v7, v4, s24
	v_add_nc_u32_e32 v10, 1, v4
	v_sub_nc_u32_e32 v7, v5, v7
	v_subrev_nc_u32_e32 v11, s24, v7
	v_cmp_le_u32_e32 vcc_lo, s24, v7
	v_cndmask_b32_e32 v7, v7, v11, vcc_lo
	v_cndmask_b32_e32 v4, v4, v10, vcc_lo
	v_cmp_le_u32_e32 vcc_lo, s24, v7
	v_add_nc_u32_e32 v10, 1, v4
	v_cndmask_b32_e32 v12, v4, v10, vcc_lo
.LBB0_6:                                ;   in Loop: Header=BB0_2 Depth=1
	s_or_b32 exec_lo, exec_lo, s0
	v_mul_lo_u32 v4, v13, s24
	v_mul_lo_u32 v7, v12, s25
	s_load_dwordx2 s[0:1], s[6:7], 0x0
	v_mad_u64_u32 v[10:11], null, v12, s24, 0
	s_load_dwordx2 s[24:25], s[2:3], 0x0
	s_add_u32 s22, s22, 1
	s_addc_u32 s23, s23, 0
	s_add_u32 s2, s2, 8
	s_addc_u32 s3, s3, 0
	s_add_u32 s6, s6, 8
	v_add3_u32 v4, v11, v7, v4
	v_sub_co_u32 v5, vcc_lo, v5, v10
	s_addc_u32 s7, s7, 0
	s_add_u32 s20, s20, 8
	v_sub_co_ci_u32_e32 v4, vcc_lo, v6, v4, vcc_lo
	s_addc_u32 s21, s21, 0
	s_waitcnt lgkmcnt(0)
	v_mul_lo_u32 v6, s0, v4
	v_mul_lo_u32 v7, s1, v5
	v_mad_u64_u32 v[1:2], null, s0, v5, v[1:2]
	v_mul_lo_u32 v4, s24, v4
	v_mul_lo_u32 v10, s25, v5
	v_mad_u64_u32 v[8:9], null, s24, v5, v[8:9]
	v_cmp_ge_u64_e64 s0, s[22:23], s[14:15]
	v_add3_u32 v2, v7, v2, v6
	v_add3_u32 v9, v10, v9, v4
	s_and_b32 vcc_lo, exec_lo, s0
	s_cbranch_vccnz .LBB0_9
; %bb.7:                                ;   in Loop: Header=BB0_2 Depth=1
	v_mov_b32_e32 v5, v12
	v_mov_b32_e32 v6, v13
	s_branch .LBB0_2
.LBB0_8:
	v_mov_b32_e32 v9, v2
	v_mov_b32_e32 v13, v6
	;; [unrolled: 1-line block ×4, first 2 shown]
.LBB0_9:
	s_load_dwordx2 s[0:1], s[4:5], 0x28
	s_lshl_b64 s[4:5], s[14:15], 3
	v_and_b32_e32 v10, 15, v0
	s_add_u32 s2, s18, s4
	s_addc_u32 s3, s19, s5
                                        ; implicit-def: $vgpr14
                                        ; implicit-def: $vgpr20
                                        ; implicit-def: $vgpr18
                                        ; implicit-def: $vgpr16
                                        ; implicit-def: $vgpr6
                                        ; implicit-def: $vgpr4
	s_waitcnt lgkmcnt(0)
	v_cmp_gt_u64_e32 vcc_lo, s[0:1], v[12:13]
	v_cmp_le_u64_e64 s0, s[0:1], v[12:13]
	s_and_saveexec_b32 s1, s0
	s_xor_b32 s0, exec_lo, s1
	s_cbranch_execz .LBB0_11
; %bb.10:
	v_and_b32_e32 v10, 15, v0
	v_mov_b32_e32 v11, 0
                                        ; implicit-def: $vgpr1_vgpr2
	v_or_b32_e32 v14, 16, v10
	v_or_b32_e32 v20, 32, v10
	;; [unrolled: 1-line block ×6, first 2 shown]
	v_mov_b32_e32 v15, v11
	v_mov_b32_e32 v21, v11
	;; [unrolled: 1-line block ×6, first 2 shown]
.LBB0_11:
	s_or_saveexec_b32 s1, s0
	v_mul_u32_u24_e32 v0, 0xe1, v22
	v_lshlrev_b32_e32 v37, 4, v0
	s_xor_b32 exec_lo, exec_lo, s1
	s_cbranch_execz .LBB0_13
; %bb.12:
	s_add_u32 s4, s16, s4
	s_addc_u32 s5, s17, s5
	v_lshlrev_b32_e32 v36, 4, v10
	s_load_dwordx2 s[4:5], s[4:5], 0x0
	v_or_b32_e32 v6, 0x800, v36
	v_or_b32_e32 v11, 0x900, v36
	;; [unrolled: 1-line block ×5, first 2 shown]
	s_waitcnt lgkmcnt(0)
	v_mul_lo_u32 v0, s5, v12
	v_mul_lo_u32 v5, s4, v13
	v_mad_u64_u32 v[3:4], null, s4, v12, 0
	v_add3_u32 v4, v4, v5, v0
	v_lshlrev_b64 v[0:1], 4, v[1:2]
	v_lshlrev_b64 v[2:3], 4, v[3:4]
	v_add_co_u32 v2, s0, s8, v2
	v_add_co_ci_u32_e64 v3, s0, s9, v3, s0
	v_add_co_u32 v0, s0, v2, v0
	v_add_co_ci_u32_e64 v1, s0, v3, v1, s0
	v_or_b32_e32 v2, 0xd00, v36
	v_add_co_u32 v4, s0, v0, v36
	v_add_co_ci_u32_e64 v5, s0, 0, v1, s0
	v_add_co_u32 v6, s0, v0, v6
	v_add_co_ci_u32_e64 v7, s0, 0, v1, s0
	;; [unrolled: 2-line block ×7, first 2 shown]
	s_clause 0xd
	global_load_dwordx4 v[0:3], v[4:5], off
	global_load_dwordx4 v[22:25], v[4:5], off offset:256
	global_load_dwordx4 v[26:29], v[4:5], off offset:512
	;; [unrolled: 1-line block ×7, first 2 shown]
	global_load_dwordx4 v[54:57], v[6:7], off
	global_load_dwordx4 v[58:61], v[14:15], off
	;; [unrolled: 1-line block ×6, first 2 shown]
	v_mov_b32_e32 v11, 0
	v_or_b32_e32 v14, 16, v10
	v_or_b32_e32 v20, 32, v10
	;; [unrolled: 1-line block ×6, first 2 shown]
	v_add3_u32 v34, 0, v37, v36
	v_mov_b32_e32 v15, v11
	v_mov_b32_e32 v21, v11
	;; [unrolled: 1-line block ×6, first 2 shown]
	s_waitcnt vmcnt(13)
	ds_write_b128 v34, v[0:3]
	s_waitcnt vmcnt(12)
	ds_write_b128 v34, v[22:25] offset:256
	s_waitcnt vmcnt(11)
	ds_write_b128 v34, v[26:29] offset:512
	s_waitcnt vmcnt(10)
	ds_write_b128 v34, v[30:33] offset:768
	s_waitcnt vmcnt(9)
	ds_write_b128 v34, v[38:41] offset:1024
	s_waitcnt vmcnt(8)
	ds_write_b128 v34, v[42:45] offset:1280
	s_waitcnt vmcnt(7)
	ds_write_b128 v34, v[46:49] offset:1536
	s_waitcnt vmcnt(6)
	ds_write_b128 v34, v[50:53] offset:1792
	s_waitcnt vmcnt(5)
	ds_write_b128 v34, v[54:57] offset:2048
	s_waitcnt vmcnt(4)
	ds_write_b128 v34, v[58:61] offset:2304
	s_waitcnt vmcnt(3)
	ds_write_b128 v34, v[62:65] offset:2560
	s_waitcnt vmcnt(2)
	ds_write_b128 v34, v[66:69] offset:2816
	s_waitcnt vmcnt(1)
	ds_write_b128 v34, v[70:73] offset:3072
	s_waitcnt vmcnt(0)
	ds_write_b128 v34, v[74:77] offset:3328
.LBB0_13:
	s_or_b32 exec_lo, exec_lo, s1
	v_lshlrev_b32_e32 v35, 4, v10
	s_load_dwordx2 s[2:3], s[2:3], 0x0
	s_waitcnt lgkmcnt(0)
	s_barrier
	buffer_gl0_inv
	v_add3_u32 v36, 0, v35, v37
	v_add_nc_u32_e32 v34, 0, v37
	s_mov_b32 s0, 0x36b3c0b5
	s_mov_b32 s6, 0xe976ee23
	;; [unrolled: 1-line block ×3, first 2 shown]
	ds_read_b128 v[22:25], v36 offset:3072
	ds_read_b128 v[26:29], v36 offset:512
	;; [unrolled: 1-line block ×12, first 2 shown]
	s_mov_b32 s1, 0x3fac98ee
	s_mov_b32 s7, 0x3fe11646
	;; [unrolled: 1-line block ×12, first 2 shown]
	s_waitcnt lgkmcnt(10)
	v_add_f64 v[70:71], v[26:27], v[22:23]
	v_add_f64 v[72:73], v[28:29], v[24:25]
	s_waitcnt lgkmcnt(8)
	v_add_f64 v[74:75], v[30:31], v[38:39]
	v_add_f64 v[76:77], v[32:33], v[40:41]
	;; [unrolled: 3-line block ×4, first 2 shown]
	v_add_f64 v[30:31], v[30:31], -v[38:39]
	v_add_f64 v[32:33], v[32:33], -v[40:41]
	s_waitcnt lgkmcnt(1)
	v_add_f64 v[39:40], v[54:55], v[62:63]
	v_add_f64 v[54:55], v[62:63], -v[54:55]
	v_add_f64 v[62:63], v[64:65], -v[56:57]
	;; [unrolled: 1-line block ×4, first 2 shown]
	v_add_f64 v[56:57], v[56:57], v[64:65]
	v_add_nc_u32_e32 v38, v34, v35
	s_waitcnt lgkmcnt(0)
	v_add_f64 v[64:65], v[58:59], v[66:67]
	v_add_f64 v[90:91], v[60:61], v[68:69]
	v_add_f64 v[0:1], v[0:1], -v[42:43]
	v_add_f64 v[2:3], v[2:3], -v[44:45]
	;; [unrolled: 1-line block ×5, first 2 shown]
	v_add_f64 v[92:93], v[74:75], v[70:71]
	v_add_f64 v[94:95], v[76:77], v[72:73]
	v_add_f64 v[58:59], v[66:67], -v[58:59]
	ds_read_b128 v[22:25], v38
	ds_read_b128 v[26:29], v36 offset:256
	v_add_f64 v[96:97], v[82:83], v[78:79]
	v_add_f64 v[98:99], v[84:85], v[80:81]
	v_add_f64 v[66:67], v[74:75], -v[70:71]
	v_add_f64 v[68:69], v[76:77], -v[72:73]
	v_add_f64 v[45:46], v[39:40], -v[74:75]
	v_add_f64 v[47:48], v[54:55], -v[30:31]
	v_add_f64 v[49:50], v[62:63], -v[32:33]
	v_add_f64 v[51:52], v[30:31], -v[86:87]
	v_add_f64 v[100:101], v[32:33], -v[88:89]
	v_add_f64 v[102:103], v[56:57], -v[76:77]
	v_add_f64 v[30:31], v[54:55], v[30:31]
	v_add_f64 v[32:33], v[62:63], v[32:33]
	v_add_f64 v[53:54], v[86:87], -v[54:55]
	v_add_f64 v[62:63], v[88:89], -v[62:63]
	s_mov_b32 s20, s14
	s_mov_b32 s17, 0xbfe77f67
	;; [unrolled: 1-line block ×3, first 2 shown]
	v_add_f64 v[108:109], v[60:61], -v[43:44]
	v_add_f64 v[92:93], v[39:40], v[92:93]
	v_add_f64 v[39:40], v[70:71], -v[39:40]
	v_add_f64 v[94:95], v[56:57], v[94:95]
	;; [unrolled: 2-line block ×3, first 2 shown]
	v_add_f64 v[98:99], v[90:91], v[98:99]
	v_add_f64 v[70:71], v[64:65], -v[82:83]
	v_add_f64 v[72:73], v[90:91], -v[84:85]
	v_add_f64 v[110:111], v[58:59], v[41:42]
	v_mul_f64 v[47:48], v[47:48], s[6:7]
	v_mul_f64 v[49:50], v[49:50], s[6:7]
	;; [unrolled: 1-line block ×5, first 2 shown]
	v_add_f64 v[64:65], v[78:79], -v[64:65]
	v_add_f64 v[78:79], v[82:83], -v[78:79]
	;; [unrolled: 1-line block ×4, first 2 shown]
	v_add_f64 v[30:31], v[30:31], v[86:87]
	v_add_f64 v[86:87], v[43:44], -v[2:3]
	v_add_f64 v[41:42], v[41:42], -v[0:1]
	v_mul_f64 v[74:75], v[45:46], s[0:1]
	s_waitcnt lgkmcnt(1)
	v_add_f64 v[22:23], v[22:23], v[92:93]
	v_mul_f64 v[39:40], v[39:40], s[18:19]
	v_add_f64 v[24:25], v[24:25], v[94:95]
	v_mul_f64 v[55:56], v[56:57], s[18:19]
	s_waitcnt lgkmcnt(0)
	v_add_f64 v[26:27], v[26:27], v[96:97]
	v_add_f64 v[28:29], v[28:29], v[98:99]
	;; [unrolled: 1-line block ×3, first 2 shown]
	v_add_f64 v[80:81], v[84:85], -v[80:81]
	v_mul_f64 v[84:85], v[70:71], s[0:1]
	v_fma_f64 v[51:52], v[51:52], s[4:5], -v[47:48]
	v_fma_f64 v[88:89], v[100:101], s[4:5], -v[49:50]
	;; [unrolled: 1-line block ×4, first 2 shown]
	v_fma_f64 v[47:48], v[53:54], s[14:15], v[47:48]
	v_fma_f64 v[49:50], v[62:63], s[14:15], v[49:50]
	v_fma_f64 v[53:54], v[68:69], s[8:9], -v[106:107]
	v_add_f64 v[43:44], v[60:61], v[43:44]
	v_mul_f64 v[104:105], v[108:109], s[6:7]
	v_mul_f64 v[82:83], v[82:83], s[6:7]
	v_add_f64 v[57:58], v[0:1], -v[58:59]
	v_add_f64 v[59:60], v[2:3], -v[60:61]
	v_mul_f64 v[64:65], v[64:65], s[18:19]
	v_fma_f64 v[62:63], v[92:93], s[22:23], v[22:23]
	v_mul_f64 v[92:93], v[72:73], s[0:1]
	v_mul_f64 v[90:91], v[90:91], s[18:19]
	;; [unrolled: 1-line block ×4, first 2 shown]
	v_fma_f64 v[74:75], v[66:67], s[8:9], -v[74:75]
	v_fma_f64 v[66:67], v[66:67], s[16:17], -v[39:40]
	v_fma_f64 v[94:95], v[94:95], s[22:23], v[24:25]
	v_fma_f64 v[39:40], v[45:46], s[0:1], v[39:40]
	v_fma_f64 v[45:46], v[68:69], s[16:17], -v[55:56]
	v_fma_f64 v[55:56], v[102:103], s[0:1], v[55:56]
	s_mov_b32 s6, 0x37c3f68c
	s_mov_b32 s7, 0xbfdc38aa
	v_add_f64 v[0:1], v[110:111], v[0:1]
	v_fma_f64 v[68:69], v[32:33], s[6:7], v[88:89]
	v_fma_f64 v[84:85], v[78:79], s[8:9], -v[84:85]
	v_add_f64 v[2:3], v[43:44], v[2:3]
	v_fma_f64 v[43:44], v[86:87], s[4:5], -v[104:105]
	v_fma_f64 v[41:42], v[41:42], s[4:5], -v[82:83]
	v_fma_f64 v[51:52], v[30:31], s[6:7], v[51:52]
	v_fma_f64 v[76:77], v[30:31], s[6:7], v[76:77]
	v_fma_f64 v[78:79], v[78:79], s[16:17], -v[64:65]
	v_fma_f64 v[64:65], v[70:71], s[0:1], v[64:65]
	v_fma_f64 v[88:89], v[80:81], s[8:9], -v[92:93]
	v_fma_f64 v[92:93], v[96:97], s[22:23], v[26:27]
	v_fma_f64 v[96:97], v[98:99], s[22:23], v[28:29]
	v_fma_f64 v[80:81], v[80:81], s[16:17], -v[90:91]
	v_fma_f64 v[86:87], v[59:60], s[20:21], -v[106:107]
	;; [unrolled: 1-line block ×3, first 2 shown]
	v_fma_f64 v[70:71], v[72:73], s[0:1], v[90:91]
	v_fma_f64 v[57:58], v[57:58], s[14:15], v[82:83]
	;; [unrolled: 1-line block ×4, first 2 shown]
	v_add_f64 v[66:67], v[66:67], v[62:63]
	v_add_f64 v[74:75], v[74:75], v[62:63]
	;; [unrolled: 1-line block ×4, first 2 shown]
	v_fma_f64 v[90:91], v[30:31], s[6:7], v[47:48]
	v_fma_f64 v[100:101], v[32:33], s[6:7], v[49:50]
	v_add_f64 v[61:62], v[39:40], v[62:63]
	v_add_f64 v[94:95], v[55:56], v[94:95]
	v_fma_f64 v[104:105], v[0:1], s[6:7], v[41:42]
	v_fma_f64 v[102:103], v[2:3], s[6:7], v[43:44]
	s_barrier
	buffer_gl0_inv
	v_add_f64 v[78:79], v[78:79], v[92:93]
	v_add_f64 v[88:89], v[88:89], v[96:97]
	;; [unrolled: 1-line block ×3, first 2 shown]
	v_fma_f64 v[86:87], v[2:3], s[6:7], v[86:87]
	v_fma_f64 v[98:99], v[0:1], s[6:7], v[98:99]
	v_add_f64 v[96:97], v[70:71], v[96:97]
	v_fma_f64 v[0:1], v[0:1], s[6:7], v[57:58]
	v_add_f64 v[84:85], v[84:85], v[92:93]
	v_add_f64 v[92:93], v[64:65], v[92:93]
	v_fma_f64 v[2:3], v[2:3], s[6:7], v[59:60]
	v_add_f64 v[43:44], v[66:67], v[72:73]
	v_add_f64 v[47:48], v[66:67], -v[72:73]
	v_and_b32_e32 v67, 0xff, v10
	v_add_f64 v[30:31], v[74:75], -v[68:69]
	v_add_f64 v[39:40], v[74:75], v[68:69]
	v_add_f64 v[32:33], v[51:52], v[53:54]
	v_add_f64 v[41:42], v[53:54], -v[51:52]
	v_mul_lo_u16 v75, v67, 37
	v_add_f64 v[51:52], v[61:62], v[100:101]
	v_add_f64 v[53:54], v[94:95], -v[90:91]
	v_add_f64 v[45:46], v[82:83], -v[76:77]
	v_add_f64 v[49:50], v[76:77], v[82:83]
	v_lshrrev_b16 v83, 8, v75
	v_add_f64 v[55:56], v[61:62], -v[100:101]
	v_add_f64 v[57:58], v[90:91], v[94:95]
	v_add_f64 v[67:68], v[78:79], v[86:87]
	v_add_f64 v[69:70], v[80:81], -v[98:99]
	v_add_f64 v[71:72], v[78:79], -v[86:87]
	v_add_f64 v[73:74], v[98:99], v[80:81]
	v_add_f64 v[77:78], v[96:97], -v[0:1]
	v_add_f64 v[81:82], v[0:1], v[96:97]
	v_sub_nc_u16 v1, v10, v83
	v_and_b32_e32 v0, 0xff, v14
	v_add_f64 v[75:76], v[92:93], v[2:3]
	v_add_f64 v[79:80], v[92:93], -v[2:3]
	v_mad_u32_u24 v2, 0x70, v10, v34
	v_lshrrev_b16 v1, 1, v1
	v_mul_lo_u16 v3, v0, 37
	ds_write_b128 v2, v[22:25]
	ds_write_b128 v2, v[51:54] offset:16
	v_and_b32_e32 v1, 0x7f, v1
	v_lshrrev_b16 v3, 8, v3
	ds_write_b128 v2, v[43:46] offset:32
	ds_write_b128 v2, v[30:33] offset:48
	;; [unrolled: 1-line block ×5, first 2 shown]
	v_add_nc_u16 v1, v1, v83
	v_sub_nc_u16 v22, v14, v3
	v_mad_i32_i24 v110, 0x70, v14, v34
	v_and_b32_e32 v25, 0xff, v18
	v_add_f64 v[59:60], v[84:85], -v[102:103]
	v_lshrrev_b16 v2, 2, v1
	v_lshrrev_b16 v22, 1, v22
	v_and_b32_e32 v1, 0xff, v20
	ds_write_b128 v110, v[26:29]
	v_mul_lo_u16 v27, v25, 37
	v_mul_lo_u16 v23, v2, 7
	v_and_b32_e32 v22, 0x7f, v22
	v_mul_lo_u16 v24, v1, 37
	v_add_f64 v[61:62], v[104:105], v[88:89]
	v_add_f64 v[63:64], v[84:85], v[102:103]
	v_add_f64 v[65:66], v[88:89], -v[104:105]
	v_add_nc_u16 v3, v22, v3
	v_lshrrev_b16 v28, 8, v24
	v_sub_nc_u16 v22, v10, v23
	v_mov_b32_e32 v24, 4
	v_lshrrev_b16 v32, 8, v27
	v_lshrrev_b16 v3, 2, v3
	v_sub_nc_u16 v23, v20, v28
	v_and_b32_e32 v27, 0xff, v6
	v_lshlrev_b32_sdwa v22, v24, v22 dst_sel:DWORD dst_unused:UNUSED_PAD src0_sel:DWORD src1_sel:BYTE_0
	v_sub_nc_u16 v31, v18, v32
	v_mul_lo_u16 v26, v3, 7
	v_lshrrev_b16 v23, 1, v23
	v_mul_lo_u16 v33, v27, 37
	ds_write_b128 v110, v[75:78] offset:16
	ds_write_b128 v110, v[67:70] offset:32
	v_lshrrev_b16 v43, 1, v31
	v_sub_nc_u16 v29, v14, v26
	v_and_b32_e32 v30, 0x7f, v23
	v_and_b32_e32 v26, 0xff, v16
	v_lshrrev_b16 v45, 8, v33
	v_and_b32_e32 v33, 0x7f, v43
	v_lshlrev_b32_sdwa v23, v24, v29 dst_sel:DWORD dst_unused:UNUSED_PAD src0_sel:DWORD src1_sel:BYTE_0
	v_add_nc_u16 v29, v30, v28
	v_mul_lo_u16 v30, v26, 37
	v_and_b32_e32 v28, 0xff, v4
	ds_write_b128 v110, v[59:62] offset:48
	ds_write_b128 v110, v[63:66] offset:64
	;; [unrolled: 1-line block ×3, first 2 shown]
	v_lshrrev_b16 v31, 2, v29
	v_lshrrev_b16 v30, 8, v30
	v_mul_lo_u16 v44, v28, 37
	ds_write_b128 v110, v[79:82] offset:96
	s_waitcnt lgkmcnt(0)
	s_barrier
	v_sub_nc_u16 v29, v16, v30
	v_lshrrev_b16 v43, 8, v44
	buffer_gl0_inv
	s_clause 0x1
	global_load_dwordx4 v[39:42], v22, s[12:13]
	global_load_dwordx4 v[52:55], v23, s[12:13]
	v_sub_nc_u16 v44, v6, v45
	v_lshrrev_b16 v29, 1, v29
	v_sub_nc_u16 v47, v4, v43
	v_mul_lo_u16 v46, v31, 7
	v_add_nc_u16 v32, v33, v32
	v_lshrrev_b16 v44, 1, v44
	v_and_b32_e32 v29, 0x7f, v29
	v_lshrrev_b16 v47, 1, v47
	v_sub_nc_u16 v46, v20, v46
	v_lshrrev_b16 v33, 2, v32
	v_and_b32_e32 v44, 0x7f, v44
	v_add_nc_u16 v29, v29, v30
	v_and_b32_e32 v47, 0x7f, v47
	v_lshlrev_b32_sdwa v32, v24, v46 dst_sel:DWORD dst_unused:UNUSED_PAD src0_sel:DWORD src1_sel:BYTE_0
	v_mul_lo_u16 v30, v33, 7
	v_add_nc_u16 v44, v44, v45
	v_lshrrev_b16 v46, 2, v29
	v_add_nc_u16 v29, v47, v43
	global_load_dwordx4 v[56:59], v32, s[12:13]
	v_sub_nc_u16 v30, v18, v30
	v_lshrrev_b16 v48, 2, v44
	v_mul_lo_u16 v43, v46, 7
	v_lshrrev_b16 v51, 2, v29
	v_cmp_gt_u32_e64 s0, 14, v10
	v_lshlrev_b32_sdwa v45, v24, v30 dst_sel:DWORD dst_unused:UNUSED_PAD src0_sel:DWORD src1_sel:BYTE_0
	v_mul_lo_u16 v29, v48, 7
	v_sub_nc_u16 v30, v16, v43
	v_mul_lo_u16 v43, v51, 7
	v_and_b32_e32 v2, 0xffff, v2
	global_load_dwordx4 v[60:63], v45, s[12:13]
	v_sub_nc_u16 v29, v6, v29
	v_lshlrev_b32_sdwa v47, v24, v30 dst_sel:DWORD dst_unused:UNUSED_PAD src0_sel:DWORD src1_sel:BYTE_0
	v_sub_nc_u16 v30, v4, v43
	v_and_b32_e32 v3, 0xffff, v3
	v_and_b32_e32 v31, 0xffff, v31
	v_lshlrev_b32_sdwa v49, v24, v29 dst_sel:DWORD dst_unused:UNUSED_PAD src0_sel:DWORD src1_sel:BYTE_0
	global_load_dwordx4 v[64:67], v47, s[12:13]
	v_lshlrev_b32_sdwa v50, v24, v30 dst_sel:DWORD dst_unused:UNUSED_PAD src0_sel:DWORD src1_sel:BYTE_0
	s_clause 0x1
	global_load_dwordx4 v[68:71], v49, s[12:13]
	global_load_dwordx4 v[72:75], v50, s[12:13]
	ds_read_b128 v[76:79], v36 offset:1792
	ds_read_b128 v[80:83], v36 offset:2048
	;; [unrolled: 1-line block ×3, first 2 shown]
	ds_read_b128 v[88:91], v38
	ds_read_b128 v[92:95], v36 offset:2560
	ds_read_b128 v[96:99], v36 offset:2816
	v_and_b32_e32 v33, 0xffff, v33
	v_and_b32_e32 v46, 0xffff, v46
	;; [unrolled: 1-line block ×4, first 2 shown]
	v_mad_u32_u24 v2, 0xe0, v2, 0
	v_mad_u32_u24 v3, 0xe0, v3, 0
	v_mad_u32_u24 v31, 0xe0, v31, 0
	v_mad_u32_u24 v33, 0xe0, v33, 0
	v_mad_u32_u24 v46, 0xe0, v46, 0
	v_mad_u32_u24 v48, 0xe0, v48, 0
	v_mad_u32_u24 v51, 0xe0, v51, 0
	v_add3_u32 v2, v2, v22, v37
	v_add3_u32 v3, v3, v23, v37
	;; [unrolled: 1-line block ×7, first 2 shown]
	v_lshrrev_b16 v45, 1, v28
	s_add_u32 s1, s12, 0xd90
	s_addc_u32 s4, s13, 0
	s_mov_b32 s5, exec_lo
	s_waitcnt vmcnt(6) lgkmcnt(5)
	v_mul_f64 v[29:30], v[78:79], v[41:42]
	v_mul_f64 v[41:42], v[76:77], v[41:42]
	s_waitcnt vmcnt(5) lgkmcnt(4)
	v_mul_f64 v[43:44], v[82:83], v[54:55]
	v_mul_f64 v[54:55], v[80:81], v[54:55]
	;; [unrolled: 3-line block ×3, first 2 shown]
	v_fma_f64 v[29:30], v[76:77], v[39:40], v[29:30]
	v_fma_f64 v[106:107], v[78:79], v[39:40], -v[41:42]
	ds_read_b128 v[76:79], v36 offset:3072
	ds_read_b128 v[100:103], v36 offset:3328
	v_fma_f64 v[80:81], v[80:81], v[52:53], v[43:44]
	v_fma_f64 v[82:83], v[82:83], v[52:53], -v[54:55]
	v_mad_i32_i24 v44, 0xffffffa0, v14, v110
	v_lshl_add_u32 v43, v20, 4, v34
	v_lshl_add_u32 v42, v18, 4, v34
	;; [unrolled: 1-line block ×3, first 2 shown]
	s_waitcnt vmcnt(3) lgkmcnt(3)
	v_mul_f64 v[52:53], v[92:93], v[62:63]
	v_mul_f64 v[108:109], v[94:95], v[62:63]
	v_lshl_add_u32 v39, v6, 4, v34
	v_lshl_add_u32 v41, v4, 4, v34
	s_waitcnt vmcnt(2) lgkmcnt(2)
	v_mul_f64 v[54:55], v[98:99], v[66:67]
	v_mul_f64 v[62:63], v[96:97], v[66:67]
	v_fma_f64 v[84:85], v[84:85], v[56:57], v[104:105]
	s_waitcnt vmcnt(1) lgkmcnt(1)
	v_mul_f64 v[66:67], v[78:79], v[70:71]
	v_mul_f64 v[70:71], v[76:77], v[70:71]
	s_waitcnt vmcnt(0) lgkmcnt(0)
	v_mul_f64 v[104:105], v[102:103], v[74:75]
	v_mul_f64 v[74:75], v[100:101], v[74:75]
	v_fma_f64 v[86:87], v[86:87], v[56:57], -v[58:59]
	ds_read_b128 v[56:59], v43
	v_fma_f64 v[94:95], v[94:95], v[60:61], -v[52:53]
	v_fma_f64 v[92:93], v[92:93], v[60:61], v[108:109]
	v_fma_f64 v[96:97], v[96:97], v[64:65], v[54:55]
	ds_read_b128 v[52:55], v44
	v_fma_f64 v[98:99], v[98:99], v[64:65], -v[62:63]
	ds_read_b128 v[60:63], v42
	v_fma_f64 v[108:109], v[76:77], v[68:69], v[66:67]
	v_fma_f64 v[110:111], v[78:79], v[68:69], -v[70:71]
	ds_read_b128 v[64:67], v40
	ds_read_b128 v[68:71], v39
	v_fma_f64 v[104:105], v[100:101], v[72:73], v[104:105]
	v_fma_f64 v[112:113], v[102:103], v[72:73], -v[74:75]
	ds_read_b128 v[72:75], v41
	v_add_f64 v[76:77], v[88:89], -v[29:30]
	v_add_f64 v[78:79], v[90:91], -v[106:107]
	s_waitcnt lgkmcnt(5)
	v_add_f64 v[84:85], v[56:57], -v[84:85]
	v_add_f64 v[86:87], v[58:59], -v[86:87]
	v_add_nc_u32_e32 v29, -14, v10
	v_lshrrev_b16 v30, 1, v0
	s_waitcnt lgkmcnt(0)
	s_barrier
	buffer_gl0_inv
	v_add_f64 v[80:81], v[52:53], -v[80:81]
	v_add_f64 v[82:83], v[54:55], -v[82:83]
	;; [unrolled: 1-line block ×4, first 2 shown]
	v_cndmask_b32_e64 v0, v29, v10, s0
	v_mul_lo_u16 v29, 0x93, v30
	v_add_f64 v[96:97], v[64:65], -v[96:97]
	v_add_f64 v[98:99], v[66:67], -v[98:99]
	;; [unrolled: 1-line block ×6, first 2 shown]
	v_lshrrev_b16 v108, 1, v1
	v_fma_f64 v[88:89], v[88:89], 2.0, -v[76:77]
	v_fma_f64 v[90:91], v[90:91], 2.0, -v[78:79]
	v_mov_b32_e32 v1, 0
	v_fma_f64 v[56:57], v[56:57], 2.0, -v[84:85]
	v_fma_f64 v[58:59], v[58:59], 2.0, -v[86:87]
	v_mul_lo_u16 v30, 0x93, v108
	v_lshrrev_b16 v29, 10, v29
	v_lshlrev_b64 v[108:109], 4, v[0:1]
	v_fma_f64 v[52:53], v[52:53], 2.0, -v[80:81]
	v_fma_f64 v[54:55], v[54:55], 2.0, -v[82:83]
	;; [unrolled: 1-line block ×4, first 2 shown]
	v_add_co_u32 v108, s0, s12, v108
	v_fma_f64 v[64:65], v[64:65], 2.0, -v[96:97]
	v_fma_f64 v[66:67], v[66:67], 2.0, -v[98:99]
	;; [unrolled: 1-line block ×6, first 2 shown]
	v_add_co_ci_u32_e64 v109, s0, s13, v109, s0
	v_mul_lo_u16 v110, v29, 14
	ds_write_b128 v2, v[76:79] offset:112
	ds_write_b128 v2, v[88:91]
	ds_write_b128 v3, v[52:55]
	ds_write_b128 v3, v[80:83] offset:112
	ds_write_b128 v22, v[56:59]
	ds_write_b128 v22, v[84:87] offset:112
	;; [unrolled: 2-line block ×6, first 2 shown]
	s_waitcnt lgkmcnt(0)
	s_barrier
	buffer_gl0_inv
	global_load_dwordx4 v[52:55], v[108:109], off offset:112
	v_lshrrev_b16 v30, 10, v30
	v_sub_nc_u16 v2, v14, v110
	v_lshrrev_b16 v22, 1, v25
	v_lshrrev_b16 v23, 1, v27
	v_cmp_lt_u32_e64 s0, 13, v10
	v_mul_lo_u16 v3, v30, 14
	v_lshlrev_b32_sdwa v31, v24, v2 dst_sel:DWORD dst_unused:UNUSED_PAD src0_sel:DWORD src1_sel:BYTE_0
	v_lshrrev_b16 v2, 1, v26
	v_mul_lo_u16 v22, 0x93, v22
	v_and_b32_e32 v29, 0xffff, v29
	v_sub_nc_u16 v3, v20, v3
	global_load_dwordx4 v[56:59], v31, s[12:13] offset:112
	v_mul_lo_u16 v2, 0x93, v2
	v_lshrrev_b16 v33, 10, v22
	v_mul_lo_u16 v22, 0x93, v45
	v_lshlrev_b32_sdwa v32, v24, v3 dst_sel:DWORD dst_unused:UNUSED_PAD src0_sel:DWORD src1_sel:BYTE_0
	v_mul_lo_u16 v3, 0x93, v23
	v_lshrrev_b16 v45, 10, v2
	v_mul_lo_u16 v2, v33, 14
	v_lshrrev_b16 v48, 10, v22
	global_load_dwordx4 v[60:63], v32, s[12:13] offset:112
	v_lshrrev_b16 v47, 10, v3
	v_mul_lo_u16 v3, v45, 14
	v_sub_nc_u16 v2, v18, v2
	v_mul_lo_u16 v23, v48, 14
	v_and_b32_e32 v30, 0xffff, v30
	v_mul_lo_u16 v22, v47, 14
	v_sub_nc_u16 v3, v16, v3
	v_lshlrev_b32_sdwa v46, v24, v2 dst_sel:DWORD dst_unused:UNUSED_PAD src0_sel:DWORD src1_sel:BYTE_0
	v_and_b32_e32 v45, 0xffff, v45
	v_and_b32_e32 v48, 0xffff, v48
	v_sub_nc_u16 v2, v6, v22
	v_sub_nc_u16 v22, v4, v23
	v_lshlrev_b32_sdwa v49, v24, v3 dst_sel:DWORD dst_unused:UNUSED_PAD src0_sel:DWORD src1_sel:BYTE_0
	global_load_dwordx4 v[64:67], v46, s[12:13] offset:112
	v_and_b32_e32 v33, 0xffff, v33
	v_lshlrev_b32_sdwa v50, v24, v2 dst_sel:DWORD dst_unused:UNUSED_PAD src0_sel:DWORD src1_sel:BYTE_0
	v_lshlrev_b32_sdwa v51, v24, v22 dst_sel:DWORD dst_unused:UNUSED_PAD src0_sel:DWORD src1_sel:BYTE_0
	s_clause 0x2
	global_load_dwordx4 v[68:71], v49, s[12:13] offset:112
	global_load_dwordx4 v[72:75], v50, s[12:13] offset:112
	;; [unrolled: 1-line block ×3, first 2 shown]
	ds_read_b128 v[80:83], v36 offset:1792
	ds_read_b128 v[84:87], v36 offset:2048
	;; [unrolled: 1-line block ×3, first 2 shown]
	ds_read_b128 v[92:95], v38
	ds_read_b128 v[96:99], v36 offset:2560
	ds_read_b128 v[100:103], v36 offset:2816
	v_and_b32_e32 v47, 0xffff, v47
	v_mad_u32_u24 v29, 0x1c0, v29, 0
	v_mad_u32_u24 v30, 0x1c0, v30, 0
	;; [unrolled: 1-line block ×6, first 2 shown]
	v_add3_u32 v29, v29, v31, v37
	v_add3_u32 v30, v30, v32, v37
	;; [unrolled: 1-line block ×6, first 2 shown]
	v_lshrrev_b16 v27, 2, v27
	v_lshlrev_b64 v[20:21], 4, v[20:21]
	s_waitcnt vmcnt(6) lgkmcnt(5)
	v_mul_f64 v[2:3], v[82:83], v[54:55]
	v_mul_f64 v[22:23], v[80:81], v[54:55]
	s_waitcnt vmcnt(5) lgkmcnt(4)
	v_mul_f64 v[104:105], v[86:87], v[58:59]
	v_mul_f64 v[58:59], v[84:85], v[58:59]
	s_waitcnt vmcnt(4) lgkmcnt(3)
	v_mul_f64 v[106:107], v[90:91], v[62:63]
	v_fma_f64 v[2:3], v[80:81], v[52:53], v[2:3]
	v_fma_f64 v[22:23], v[82:83], v[52:53], -v[22:23]
	ds_read_b128 v[52:55], v36 offset:3072
	ds_read_b128 v[80:83], v36 offset:3328
	v_mul_f64 v[62:63], v[88:89], v[62:63]
	v_fma_f64 v[84:85], v[84:85], v[56:57], v[104:105]
	v_fma_f64 v[86:87], v[86:87], v[56:57], -v[58:59]
	s_waitcnt vmcnt(3) lgkmcnt(3)
	v_mul_f64 v[56:57], v[98:99], v[66:67]
	v_mul_f64 v[58:59], v[96:97], v[66:67]
	s_waitcnt vmcnt(2) lgkmcnt(2)
	v_mul_f64 v[66:67], v[102:103], v[70:71]
	v_mul_f64 v[70:71], v[100:101], v[70:71]
	;; [unrolled: 3-line block ×3, first 2 shown]
	v_fma_f64 v[88:89], v[88:89], v[60:61], v[106:107]
	s_waitcnt vmcnt(0) lgkmcnt(0)
	v_mul_f64 v[106:107], v[82:83], v[78:79]
	v_mul_f64 v[78:79], v[80:81], v[78:79]
	v_fma_f64 v[90:91], v[90:91], v[60:61], -v[62:63]
	v_fma_f64 v[96:97], v[96:97], v[64:65], v[56:57]
	v_fma_f64 v[98:99], v[98:99], v[64:65], -v[58:59]
	ds_read_b128 v[56:59], v44
	ds_read_b128 v[60:63], v43
	v_fma_f64 v[100:101], v[100:101], v[68:69], v[66:67]
	v_fma_f64 v[102:103], v[102:103], v[68:69], -v[70:71]
	ds_read_b128 v[64:67], v42
	ds_read_b128 v[68:71], v40
	v_fma_f64 v[104:105], v[52:53], v[72:73], v[104:105]
	v_fma_f64 v[108:109], v[54:55], v[72:73], -v[74:75]
	ds_read_b128 v[52:55], v39
	ds_read_b128 v[72:75], v41
	v_fma_f64 v[106:107], v[80:81], v[76:77], v[106:107]
	v_fma_f64 v[110:111], v[82:83], v[76:77], -v[78:79]
	v_add_f64 v[76:77], v[92:93], -v[2:3]
	v_add_f64 v[78:79], v[94:95], -v[22:23]
	v_lshlrev_b64 v[2:3], 4, v[10:11]
	v_cndmask_b32_e64 v22, 0, 0x1c0, s0
	s_waitcnt lgkmcnt(0)
	s_barrier
	buffer_gl0_inv
	v_add_f64 v[80:81], v[56:57], -v[84:85]
	v_add_f64 v[82:83], v[58:59], -v[86:87]
	v_add_f64 v[84:85], v[60:61], -v[88:89]
	v_add_f64 v[86:87], v[62:63], -v[90:91]
	v_add_f64 v[88:89], v[64:65], -v[96:97]
	v_add_f64 v[90:91], v[66:67], -v[98:99]
	v_add_f64 v[96:97], v[68:69], -v[100:101]
	v_add_f64 v[98:99], v[70:71], -v[102:103]
	v_add_f64 v[100:101], v[52:53], -v[104:105]
	v_add_f64 v[102:103], v[54:55], -v[108:109]
	v_add_nc_u32_e32 v11, 0, v22
	v_add_co_u32 v22, s0, s12, v2
	v_add_f64 v[104:105], v[72:73], -v[106:107]
	v_add_f64 v[106:107], v[74:75], -v[110:111]
	v_fma_f64 v[92:93], v[92:93], 2.0, -v[76:77]
	v_fma_f64 v[94:95], v[94:95], 2.0, -v[78:79]
	v_add_co_ci_u32_e64 v23, s0, s13, v3, s0
	v_add_nc_u32_e32 v108, -12, v10
	v_lshlrev_b32_e32 v109, 4, v0
	v_cmp_gt_u32_e64 s0, 28, v14
	v_fma_f64 v[56:57], v[56:57], 2.0, -v[80:81]
	v_fma_f64 v[58:59], v[58:59], 2.0, -v[82:83]
	;; [unrolled: 1-line block ×10, first 2 shown]
	v_cndmask_b32_e64 v0, v108, v14, s0
	v_add3_u32 v11, v11, v109, v37
	v_fma_f64 v[72:73], v[72:73], 2.0, -v[104:105]
	v_fma_f64 v[74:75], v[74:75], 2.0, -v[106:107]
	ds_write_b128 v11, v[76:79] offset:224
	ds_write_b128 v11, v[92:95]
	ds_write_b128 v29, v[56:59]
	ds_write_b128 v29, v[80:83] offset:224
	ds_write_b128 v30, v[60:63]
	ds_write_b128 v30, v[84:87] offset:224
	;; [unrolled: 2-line block ×6, first 2 shown]
	v_lshrrev_b16 v11, 2, v25
	v_lshlrev_b64 v[45:46], 4, v[0:1]
	v_lshrrev_b16 v33, 2, v26
	s_waitcnt lgkmcnt(0)
	s_barrier
	v_mul_lo_u16 v11, v11, 37
	buffer_gl0_inv
	global_load_dwordx4 v[29:32], v[22:23], off offset:336
	v_add_co_u32 v25, s0, s12, v45
	v_mul_lo_u16 v33, v33, 37
	v_lshrrev_b16 v45, 2, v28
	v_add_co_ci_u32_e64 v26, s0, s13, v46, s0
	v_mul_lo_u16 v46, v27, 37
	v_lshrrev_b16 v11, 8, v11
	v_lshrrev_b16 v33, 8, v33
	v_mul_lo_u16 v49, v45, 37
	global_load_dwordx4 v[25:28], v[25:26], off offset:336
	v_lshrrev_b16 v103, 8, v46
	global_load_dwordx4 v[45:48], v[22:23], off offset:400
	v_mul_lo_u16 v50, v11, 28
	v_mul_lo_u16 v33, v33, 28
	v_lshrrev_b16 v49, 8, v49
	v_mul_lo_u16 v51, v103, 28
	v_cmp_lt_u32_e64 s0, 27, v14
	v_sub_nc_u16 v50, v18, v50
	v_sub_nc_u16 v33, v16, v33
	v_mul_lo_u16 v49, v49, 28
	v_sub_nc_u16 v53, v6, v51
	v_and_b32_e32 v11, 0xffff, v11
	v_lshlrev_b32_sdwa v104, v24, v50 dst_sel:DWORD dst_unused:UNUSED_PAD src0_sel:DWORD src1_sel:BYTE_0
	v_lshlrev_b32_sdwa v105, v24, v33 dst_sel:DWORD dst_unused:UNUSED_PAD src0_sel:DWORD src1_sel:BYTE_0
	v_sub_nc_u16 v33, v4, v49
	v_lshlrev_b32_sdwa v106, v24, v53 dst_sel:DWORD dst_unused:UNUSED_PAD src0_sel:DWORD src1_sel:BYTE_0
	v_lshlrev_b32_e32 v0, 4, v0
	s_clause 0x1
	global_load_dwordx4 v[49:52], v104, s[12:13] offset:336
	global_load_dwordx4 v[53:56], v105, s[12:13] offset:336
	v_lshlrev_b32_sdwa v107, v24, v33 dst_sel:DWORD dst_unused:UNUSED_PAD src0_sel:DWORD src1_sel:BYTE_0
	s_clause 0x1
	global_load_dwordx4 v[57:60], v106, s[12:13] offset:336
	global_load_dwordx4 v[61:64], v107, s[12:13] offset:336
	ds_read_b128 v[65:68], v36 offset:1792
	ds_read_b128 v[69:72], v36 offset:2048
	;; [unrolled: 1-line block ×3, first 2 shown]
	ds_read_b128 v[77:80], v38
	ds_read_b128 v[81:84], v36 offset:2560
	ds_read_b128 v[85:88], v36 offset:2816
	;; [unrolled: 1-line block ×4, first 2 shown]
	v_mad_u32_u24 v11, 0x380, v11, 0
	v_add3_u32 v11, v11, v104, v37
	s_waitcnt vmcnt(6) lgkmcnt(7)
	v_mul_f64 v[97:98], v[67:68], v[31:32]
	v_mul_f64 v[31:32], v[65:66], v[31:32]
	s_waitcnt vmcnt(5) lgkmcnt(6)
	v_mul_f64 v[99:100], v[71:72], v[27:28]
	v_mul_f64 v[27:28], v[69:70], v[27:28]
	s_waitcnt vmcnt(4) lgkmcnt(5)
	v_mul_f64 v[101:102], v[75:76], v[47:48]
	v_fma_f64 v[65:66], v[65:66], v[29:30], v[97:98]
	v_fma_f64 v[32:33], v[67:68], v[29:30], -v[31:32]
	v_mul_f64 v[29:30], v[73:74], v[47:48]
	s_waitcnt vmcnt(3) lgkmcnt(3)
	v_mul_f64 v[47:48], v[83:84], v[51:52]
	v_mul_f64 v[51:52], v[81:82], v[51:52]
	s_waitcnt vmcnt(2) lgkmcnt(2)
	v_mul_f64 v[67:68], v[87:88], v[55:56]
	v_mul_f64 v[55:56], v[85:86], v[55:56]
	v_fma_f64 v[69:70], v[69:70], v[25:26], v[99:100]
	s_waitcnt vmcnt(1) lgkmcnt(1)
	v_mul_f64 v[97:98], v[91:92], v[59:60]
	v_mul_f64 v[59:60], v[89:90], v[59:60]
	s_waitcnt vmcnt(0) lgkmcnt(0)
	v_mul_f64 v[99:100], v[95:96], v[63:64]
	v_mul_f64 v[63:64], v[93:94], v[63:64]
	v_fma_f64 v[71:72], v[71:72], v[25:26], -v[27:28]
	v_fma_f64 v[73:74], v[73:74], v[45:46], v[101:102]
	v_fma_f64 v[75:76], v[75:76], v[45:46], -v[29:30]
	ds_read_b128 v[24:27], v44
	ds_read_b128 v[28:31], v43
	v_fma_f64 v[81:82], v[81:82], v[49:50], v[47:48]
	v_fma_f64 v[83:84], v[83:84], v[49:50], -v[51:52]
	v_fma_f64 v[85:86], v[85:86], v[53:54], v[67:68]
	v_fma_f64 v[87:88], v[87:88], v[53:54], -v[55:56]
	ds_read_b128 v[45:48], v42
	ds_read_b128 v[49:52], v40
	v_fma_f64 v[89:90], v[89:90], v[57:58], v[97:98]
	v_fma_f64 v[91:92], v[91:92], v[57:58], -v[59:60]
	v_fma_f64 v[93:94], v[93:94], v[61:62], v[99:100]
	ds_read_b128 v[53:56], v39
	ds_read_b128 v[57:60], v41
	v_fma_f64 v[95:96], v[95:96], v[61:62], -v[63:64]
	v_add_f64 v[61:62], v[77:78], -v[65:66]
	v_add_f64 v[63:64], v[79:80], -v[32:33]
	v_cndmask_b32_e64 v97, 0, 0x380, s0
	v_and_b32_e32 v32, 0xffff, v103
	s_waitcnt lgkmcnt(5)
	v_add_f64 v[65:66], v[24:25], -v[69:70]
	v_add_f64 v[67:68], v[26:27], -v[71:72]
	s_waitcnt lgkmcnt(4)
	v_add_f64 v[69:70], v[28:29], -v[73:74]
	v_add_f64 v[71:72], v[30:31], -v[75:76]
	v_add_nc_u32_e32 v33, 0, v97
	v_mad_u32_u24 v32, 0x380, v32, 0
	s_waitcnt lgkmcnt(0)
	s_barrier
	v_add_f64 v[73:74], v[45:46], -v[81:82]
	v_add_f64 v[75:76], v[47:48], -v[83:84]
	;; [unrolled: 1-line block ×4, first 2 shown]
	v_add3_u32 v0, v33, v0, v37
	v_add_f64 v[85:86], v[53:54], -v[89:90]
	v_add_f64 v[87:88], v[55:56], -v[91:92]
	;; [unrolled: 1-line block ×3, first 2 shown]
	v_add_nc_u32_e32 v33, v34, v105
	v_add_f64 v[91:92], v[59:60], -v[95:96]
	v_fma_f64 v[77:78], v[77:78], 2.0, -v[61:62]
	v_fma_f64 v[79:80], v[79:80], 2.0, -v[63:64]
	v_add3_u32 v32, v32, v106, v37
	v_add_nc_u32_e32 v93, v34, v107
	v_fma_f64 v[24:25], v[24:25], 2.0, -v[65:66]
	v_fma_f64 v[26:27], v[26:27], 2.0, -v[67:68]
	;; [unrolled: 1-line block ×4, first 2 shown]
	buffer_gl0_inv
	v_fma_f64 v[45:46], v[45:46], 2.0, -v[73:74]
	v_fma_f64 v[47:48], v[47:48], 2.0, -v[75:76]
	;; [unrolled: 1-line block ×8, first 2 shown]
	ds_write_b128 v36, v[61:64] offset:448
	ds_write_b128 v36, v[77:80]
	ds_write_b128 v0, v[24:27]
	ds_write_b128 v0, v[65:68] offset:448
	ds_write_b128 v36, v[28:31] offset:960
	ds_write_b128 v36, v[69:72] offset:1408
	ds_write_b128 v11, v[45:48]
	ds_write_b128 v11, v[73:76] offset:448
	ds_write_b128 v33, v[49:52] offset:1792
	ds_write_b128 v33, v[81:84] offset:2240
	;; [unrolled: 4-line block ×3, first 2 shown]
	v_lshlrev_b64 v[24:25], 4, v[14:15]
	s_waitcnt lgkmcnt(0)
	s_barrier
	buffer_gl0_inv
	global_load_dwordx4 v[26:29], v[22:23], off offset:784
	v_add_nc_u32_e32 v0, -8, v10
	v_add_co_u32 v32, s0, s12, v24
	v_add_co_ci_u32_e64 v33, s0, s13, v25, s0
	v_add_co_u32 v30, s0, s12, v20
	v_add_co_ci_u32_e64 v31, s0, s13, v21, s0
	v_cmp_gt_u32_e64 s0, 56, v18
	global_load_dwordx4 v[45:48], v[32:33], off offset:784
	v_sub_nc_u32_e32 v11, v34, v35
	global_load_dwordx4 v[49:52], v[30:31], off offset:784
	v_cndmask_b32_e64 v0, v0, v18, s0
	v_lshlrev_b64 v[53:54], 4, v[0:1]
	v_lshlrev_b32_e32 v0, 4, v0
	v_add_co_u32 v53, s0, s12, v53
	v_add_co_ci_u32_e64 v54, s0, s13, v54, s0
	s_clause 0x3
	global_load_dwordx4 v[53:56], v[53:54], off offset:784
	global_load_dwordx4 v[57:60], v[22:23], off offset:912
	;; [unrolled: 1-line block ×4, first 2 shown]
	ds_read_b128 v[69:72], v36 offset:1792
	ds_read_b128 v[73:76], v36 offset:2048
	;; [unrolled: 1-line block ×3, first 2 shown]
	ds_read_b128 v[81:84], v38
	ds_read_b128 v[85:88], v36 offset:2560
	ds_read_b128 v[89:92], v36 offset:2816
	;; [unrolled: 1-line block ×4, first 2 shown]
	v_cmp_lt_u32_e64 s0, 55, v18
	v_cndmask_b32_e64 v1, 0, 0x700, s0
	v_add_nc_u32_e32 v1, 0, v1
	v_add3_u32 v0, v1, v0, v37
	s_waitcnt vmcnt(6) lgkmcnt(7)
	v_mul_f64 v[101:102], v[71:72], v[28:29]
	v_mul_f64 v[28:29], v[69:70], v[28:29]
	s_waitcnt vmcnt(5) lgkmcnt(6)
	v_mul_f64 v[103:104], v[75:76], v[47:48]
	v_mul_f64 v[47:48], v[73:74], v[47:48]
	s_waitcnt vmcnt(4) lgkmcnt(5)
	v_mul_f64 v[105:106], v[79:80], v[51:52]
	v_fma_f64 v[69:70], v[69:70], v[26:27], v[101:102]
	v_fma_f64 v[71:72], v[71:72], v[26:27], -v[28:29]
	v_mul_f64 v[26:27], v[77:78], v[51:52]
	s_waitcnt vmcnt(3) lgkmcnt(3)
	v_mul_f64 v[28:29], v[87:88], v[55:56]
	v_mul_f64 v[51:52], v[85:86], v[55:56]
	s_waitcnt vmcnt(2) lgkmcnt(2)
	v_mul_f64 v[55:56], v[91:92], v[59:60]
	v_mul_f64 v[59:60], v[89:90], v[59:60]
	s_waitcnt vmcnt(1) lgkmcnt(1)
	v_mul_f64 v[101:102], v[95:96], v[63:64]
	v_mul_f64 v[63:64], v[93:94], v[63:64]
	v_fma_f64 v[73:74], v[73:74], v[45:46], v[103:104]
	s_waitcnt vmcnt(0) lgkmcnt(0)
	v_mul_f64 v[103:104], v[99:100], v[67:68]
	v_mul_f64 v[67:68], v[97:98], v[67:68]
	v_fma_f64 v[75:76], v[75:76], v[45:46], -v[47:48]
	v_fma_f64 v[77:78], v[77:78], v[49:50], v[105:106]
	v_fma_f64 v[79:80], v[79:80], v[49:50], -v[26:27]
	v_fma_f64 v[85:86], v[85:86], v[53:54], v[28:29]
	ds_read_b128 v[26:29], v44
	ds_read_b128 v[45:48], v43
	v_fma_f64 v[87:88], v[87:88], v[53:54], -v[51:52]
	v_fma_f64 v[89:90], v[89:90], v[57:58], v[55:56]
	v_fma_f64 v[91:92], v[91:92], v[57:58], -v[59:60]
	ds_read_b128 v[49:52], v42
	ds_read_b128 v[53:56], v40
	v_fma_f64 v[93:94], v[93:94], v[61:62], v[101:102]
	v_fma_f64 v[95:96], v[95:96], v[61:62], -v[63:64]
	v_fma_f64 v[97:98], v[97:98], v[65:66], v[103:104]
	ds_read_b128 v[57:60], v39
	ds_read_b128 v[61:64], v41
	v_fma_f64 v[99:100], v[99:100], v[65:66], -v[67:68]
	v_add_f64 v[65:66], v[81:82], -v[69:70]
	v_add_f64 v[67:68], v[83:84], -v[71:72]
	s_waitcnt lgkmcnt(0)
	s_barrier
	buffer_gl0_inv
	v_add_f64 v[69:70], v[26:27], -v[73:74]
	v_add_f64 v[71:72], v[28:29], -v[75:76]
	;; [unrolled: 1-line block ×12, first 2 shown]
	v_fma_f64 v[81:82], v[81:82], 2.0, -v[65:66]
	v_fma_f64 v[83:84], v[83:84], 2.0, -v[67:68]
	;; [unrolled: 1-line block ×10, first 2 shown]
	v_lshlrev_b64 v[28:29], 4, v[18:19]
	v_fma_f64 v[57:58], v[57:58], 2.0, -v[89:90]
	v_fma_f64 v[59:60], v[59:60], 2.0, -v[91:92]
	;; [unrolled: 1-line block ×3, first 2 shown]
	v_lshlrev_b64 v[26:27], 4, v[16:17]
	v_fma_f64 v[63:64], v[63:64], 2.0, -v[95:96]
	ds_write_b128 v36, v[65:68] offset:896
	ds_write_b128 v36, v[81:84]
	ds_write_b128 v44, v[97:100]
	ds_write_b128 v44, v[69:72] offset:896
	ds_write_b128 v43, v[45:48]
	ds_write_b128 v43, v[73:76] offset:896
	;; [unrolled: 2-line block ×3, first 2 shown]
	ds_write_b128 v36, v[53:56] offset:1920
	ds_write_b128 v36, v[85:88] offset:2816
	;; [unrolled: 1-line block ×6, first 2 shown]
	s_waitcnt lgkmcnt(0)
	s_barrier
	buffer_gl0_inv
	global_load_dwordx4 v[45:48], v[22:23], off offset:1680
	v_lshlrev_b64 v[17:18], 4, v[6:7]
	v_add_co_u32 v0, s0, s12, v28
	v_add_co_ci_u32_e64 v1, s0, s13, v29, s0
	v_lshlrev_b64 v[15:16], 4, v[4:5]
	global_load_dwordx4 v[4:7], v[32:33], off offset:1680
	v_add_co_u32 v22, s0, s12, v26
	v_add_co_ci_u32_e64 v23, s0, s13, v27, s0
	v_add_co_u32 v57, s0, s12, v17
	v_add_co_ci_u32_e64 v58, s0, s13, v18, s0
	s_clause 0x2
	global_load_dwordx4 v[30:33], v[30:31], off offset:1680
	global_load_dwordx4 v[49:52], v[0:1], off offset:1680
	;; [unrolled: 1-line block ×3, first 2 shown]
	v_add_co_u32 v0, s0, s12, v15
	v_add_co_ci_u32_e64 v1, s0, s13, v16, s0
	s_clause 0x1
	global_load_dwordx4 v[57:60], v[57:58], off offset:1680
	global_load_dwordx4 v[61:64], v[0:1], off offset:1680
	ds_read_b128 v[65:68], v36 offset:1792
	ds_read_b128 v[69:72], v36 offset:2048
	;; [unrolled: 1-line block ×5, first 2 shown]
	ds_read_b128 v[85:88], v38
	ds_read_b128 v[89:92], v36 offset:3072
	ds_read_b128 v[93:96], v36 offset:3328
	s_waitcnt vmcnt(6) lgkmcnt(7)
	v_mul_f64 v[22:23], v[65:66], v[47:48]
	v_mul_f64 v[0:1], v[67:68], v[47:48]
	s_waitcnt vmcnt(5) lgkmcnt(6)
	v_mul_f64 v[47:48], v[71:72], v[6:7]
	v_mul_f64 v[6:7], v[69:70], v[6:7]
	;; [unrolled: 3-line block ×5, first 2 shown]
	v_fma_f64 v[22:23], v[67:68], v[45:46], -v[22:23]
	s_waitcnt vmcnt(1) lgkmcnt(1)
	v_mul_f64 v[67:68], v[91:92], v[59:60]
	v_mul_f64 v[59:60], v[89:90], v[59:60]
	s_waitcnt vmcnt(0) lgkmcnt(0)
	v_mul_f64 v[103:104], v[95:96], v[63:64]
	v_mul_f64 v[105:106], v[93:94], v[63:64]
	v_fma_f64 v[0:1], v[65:66], v[45:46], v[0:1]
	v_fma_f64 v[69:70], v[69:70], v[4:5], v[47:48]
	v_fma_f64 v[71:72], v[71:72], v[4:5], -v[6:7]
	ds_read_b128 v[4:7], v44
	ds_read_b128 v[45:48], v43
	v_fma_f64 v[73:74], v[73:74], v[30:31], v[97:98]
	v_fma_f64 v[75:76], v[75:76], v[30:31], -v[32:33]
	v_fma_f64 v[77:78], v[77:78], v[49:50], v[99:100]
	v_fma_f64 v[79:80], v[79:80], v[49:50], -v[51:52]
	;; [unrolled: 2-line block ×3, first 2 shown]
	ds_read_b128 v[30:33], v42
	ds_read_b128 v[63:66], v40
	;; [unrolled: 1-line block ×4, first 2 shown]
	v_fma_f64 v[89:90], v[89:90], v[57:58], v[67:68]
	v_fma_f64 v[91:92], v[91:92], v[57:58], -v[59:60]
	v_fma_f64 v[93:94], v[93:94], v[61:62], v[103:104]
	v_fma_f64 v[61:62], v[95:96], v[61:62], -v[105:106]
	v_add_f64 v[57:58], v[85:86], -v[0:1]
	v_add_f64 v[59:60], v[87:88], -v[22:23]
	s_waitcnt lgkmcnt(5)
	v_add_f64 v[67:68], v[4:5], -v[69:70]
	v_add_f64 v[69:70], v[6:7], -v[71:72]
	s_waitcnt lgkmcnt(0)
	s_barrier
	buffer_gl0_inv
                                        ; implicit-def: $vgpr0_vgpr1
                                        ; implicit-def: $vgpr22_vgpr23
	v_add_f64 v[71:72], v[45:46], -v[73:74]
	v_add_f64 v[73:74], v[47:48], -v[75:76]
	;; [unrolled: 1-line block ×10, first 2 shown]
	v_fma_f64 v[83:84], v[85:86], 2.0, -v[57:58]
	v_fma_f64 v[85:86], v[87:88], 2.0, -v[59:60]
	;; [unrolled: 1-line block ×14, first 2 shown]
	ds_write_b128 v36, v[57:60] offset:1792
	ds_write_b128 v36, v[83:86]
	ds_write_b128 v44, v[4:7]
	ds_write_b128 v44, v[67:70] offset:1792
	ds_write_b128 v43, v[45:48]
	ds_write_b128 v43, v[71:74] offset:1792
	;; [unrolled: 2-line block ×6, first 2 shown]
	s_waitcnt lgkmcnt(0)
	s_barrier
	buffer_gl0_inv
	ds_read_b128 v[4:7], v38
                                        ; implicit-def: $vgpr30_vgpr31
	v_cmpx_ne_u32_e32 0, v10
	s_xor_b32 s5, exec_lo, s5
	s_cbranch_execz .LBB0_15
; %bb.14:
	v_add_co_u32 v0, s0, s1, v2
	v_add_co_ci_u32_e64 v1, s0, s4, v3, s0
	global_load_dwordx4 v[44:47], v[0:1], off
	ds_read_b128 v[0:3], v11 offset:3584
	s_waitcnt lgkmcnt(0)
	v_add_f64 v[22:23], v[4:5], -v[0:1]
	v_add_f64 v[30:31], v[6:7], v[2:3]
	v_add_f64 v[2:3], v[6:7], -v[2:3]
	v_add_f64 v[0:1], v[4:5], v[0:1]
	v_mul_f64 v[6:7], v[22:23], 0.5
	v_mul_f64 v[4:5], v[30:31], 0.5
	;; [unrolled: 1-line block ×3, first 2 shown]
	s_waitcnt vmcnt(0)
	v_mul_f64 v[22:23], v[6:7], v[46:47]
	v_fma_f64 v[30:31], v[4:5], v[46:47], v[2:3]
	v_fma_f64 v[2:3], v[4:5], v[46:47], -v[2:3]
	v_fma_f64 v[32:33], v[0:1], 0.5, v[22:23]
	v_fma_f64 v[0:1], v[0:1], 0.5, -v[22:23]
	v_fma_f64 v[30:31], -v[44:45], v[6:7], v[30:31]
	v_fma_f64 v[2:3], -v[44:45], v[6:7], v[2:3]
	v_fma_f64 v[22:23], v[4:5], v[44:45], v[32:33]
	v_fma_f64 v[0:1], -v[4:5], v[44:45], v[0:1]
                                        ; implicit-def: $vgpr4_vgpr5
.LBB0_15:
	s_andn2_saveexec_b32 s0, s5
	s_cbranch_execz .LBB0_17
; %bb.16:
	ds_read_b64 v[32:33], v34 offset:1800
	s_waitcnt lgkmcnt(1)
	v_add_f64 v[22:23], v[4:5], v[6:7]
	v_add_f64 v[0:1], v[4:5], -v[6:7]
	v_mov_b32_e32 v30, 0
	v_mov_b32_e32 v31, 0
	;; [unrolled: 1-line block ×4, first 2 shown]
	s_waitcnt lgkmcnt(0)
	v_xor_b32_e32 v33, 0x80000000, v33
	ds_write_b64 v34, v[32:33] offset:1800
.LBB0_17:
	s_or_b32 exec_lo, exec_lo, s0
	s_waitcnt lgkmcnt(0)
	v_add_co_u32 v4, s0, s1, v24
	v_add_co_ci_u32_e64 v5, s0, s4, v25, s0
	v_add_co_u32 v19, s0, s1, v20
	v_add_co_ci_u32_e64 v20, s0, s4, v21, s0
	global_load_dwordx4 v[4:7], v[4:5], off
	v_lshl_add_u32 v14, v14, 4, v34
	global_load_dwordx4 v[44:47], v[19:20], off
	ds_write2_b64 v38, v[22:23], v[30:31] offset1:1
	ds_write_b128 v11, v[0:3] offset:3584
	v_add_co_u32 v23, s0, s1, v28
	ds_read_b128 v[0:3], v14
	ds_read_b128 v[19:22], v11 offset:3328
	v_add_co_ci_u32_e64 v24, s0, s4, v29, s0
	global_load_dwordx4 v[28:31], v[23:24], off
	s_waitcnt lgkmcnt(0)
	v_add_f64 v[23:24], v[0:1], -v[19:20]
	v_add_f64 v[32:33], v[2:3], v[21:22]
	v_add_f64 v[2:3], v[2:3], -v[21:22]
	v_add_f64 v[0:1], v[0:1], v[19:20]
	v_mul_f64 v[21:22], v[23:24], 0.5
	v_mul_f64 v[23:24], v[32:33], 0.5
	;; [unrolled: 1-line block ×3, first 2 shown]
	s_waitcnt vmcnt(2)
	v_mul_f64 v[19:20], v[21:22], v[6:7]
	v_fma_f64 v[32:33], v[23:24], v[6:7], v[2:3]
	v_fma_f64 v[2:3], v[23:24], v[6:7], -v[2:3]
	v_fma_f64 v[6:7], v[0:1], 0.5, v[19:20]
	v_fma_f64 v[0:1], v[0:1], 0.5, -v[19:20]
	v_fma_f64 v[19:20], -v[4:5], v[21:22], v[32:33]
	v_fma_f64 v[2:3], -v[4:5], v[21:22], v[2:3]
	v_fma_f64 v[6:7], v[23:24], v[4:5], v[6:7]
	v_fma_f64 v[0:1], -v[23:24], v[4:5], v[0:1]
	ds_write2_b64 v14, v[6:7], v[19:20] offset1:1
	ds_write_b128 v11, v[0:3] offset:3328
	v_add_co_u32 v19, s0, s1, v26
	ds_read_b128 v[0:3], v43
	ds_read_b128 v[4:7], v11 offset:3072
	v_add_co_ci_u32_e64 v20, s0, s4, v27, s0
	v_add_co_u32 v17, s0, s1, v17
	v_add_co_ci_u32_e64 v18, s0, s4, v18, s0
	global_load_dwordx4 v[19:22], v[19:20], off
	v_add_co_u32 v14, s0, s1, v15
	v_add_co_ci_u32_e64 v15, s0, s4, v16, s0
	s_waitcnt lgkmcnt(0)
	v_add_f64 v[23:24], v[0:1], -v[4:5]
	v_add_f64 v[25:26], v[2:3], v[6:7]
	v_add_f64 v[2:3], v[2:3], -v[6:7]
	v_add_f64 v[0:1], v[0:1], v[4:5]
	v_mul_f64 v[6:7], v[23:24], 0.5
	v_mul_f64 v[23:24], v[25:26], 0.5
	;; [unrolled: 1-line block ×3, first 2 shown]
	s_waitcnt vmcnt(2)
	v_mul_f64 v[4:5], v[6:7], v[46:47]
	v_fma_f64 v[25:26], v[23:24], v[46:47], v[2:3]
	v_fma_f64 v[2:3], v[23:24], v[46:47], -v[2:3]
	v_fma_f64 v[32:33], v[0:1], 0.5, v[4:5]
	v_fma_f64 v[0:1], v[0:1], 0.5, -v[4:5]
	v_fma_f64 v[4:5], -v[44:45], v[6:7], v[25:26]
	v_fma_f64 v[2:3], -v[44:45], v[6:7], v[2:3]
	v_fma_f64 v[6:7], v[23:24], v[44:45], v[32:33]
	v_fma_f64 v[0:1], -v[23:24], v[44:45], v[0:1]
	ds_write2_b64 v43, v[6:7], v[4:5] offset1:1
	ds_write_b128 v11, v[0:3] offset:3072
	ds_read_b128 v[0:3], v42
	ds_read_b128 v[4:7], v11 offset:2816
	global_load_dwordx4 v[23:26], v[17:18], off
	s_waitcnt lgkmcnt(0)
	v_add_f64 v[17:18], v[0:1], -v[4:5]
	v_add_f64 v[32:33], v[2:3], v[6:7]
	v_add_f64 v[2:3], v[2:3], -v[6:7]
	v_add_f64 v[0:1], v[0:1], v[4:5]
	v_mul_f64 v[6:7], v[17:18], 0.5
	v_mul_f64 v[17:18], v[32:33], 0.5
	;; [unrolled: 1-line block ×3, first 2 shown]
	s_waitcnt vmcnt(2)
	v_mul_f64 v[4:5], v[6:7], v[30:31]
	v_fma_f64 v[32:33], v[17:18], v[30:31], v[2:3]
	v_fma_f64 v[2:3], v[17:18], v[30:31], -v[2:3]
	v_fma_f64 v[30:31], v[0:1], 0.5, v[4:5]
	v_fma_f64 v[0:1], v[0:1], 0.5, -v[4:5]
	v_fma_f64 v[4:5], -v[28:29], v[6:7], v[32:33]
	v_fma_f64 v[2:3], -v[28:29], v[6:7], v[2:3]
	v_fma_f64 v[6:7], v[17:18], v[28:29], v[30:31]
	v_fma_f64 v[0:1], -v[17:18], v[28:29], v[0:1]
	ds_write2_b64 v42, v[6:7], v[4:5] offset1:1
	ds_write_b128 v11, v[0:3] offset:2816
	ds_read_b128 v[0:3], v40
	ds_read_b128 v[4:7], v11 offset:2560
	global_load_dwordx4 v[14:17], v[14:15], off
	s_waitcnt lgkmcnt(0)
	v_add_f64 v[27:28], v[0:1], -v[4:5]
	v_add_f64 v[29:30], v[2:3], v[6:7]
	v_add_f64 v[2:3], v[2:3], -v[6:7]
	v_add_f64 v[0:1], v[0:1], v[4:5]
	v_mul_f64 v[6:7], v[27:28], 0.5
	v_mul_f64 v[27:28], v[29:30], 0.5
	;; [unrolled: 1-line block ×3, first 2 shown]
	s_waitcnt vmcnt(2)
	v_mul_f64 v[4:5], v[6:7], v[21:22]
	v_fma_f64 v[29:30], v[27:28], v[21:22], v[2:3]
	v_fma_f64 v[2:3], v[27:28], v[21:22], -v[2:3]
	v_fma_f64 v[21:22], v[0:1], 0.5, v[4:5]
	v_fma_f64 v[0:1], v[0:1], 0.5, -v[4:5]
	v_fma_f64 v[4:5], -v[19:20], v[6:7], v[29:30]
	v_fma_f64 v[2:3], -v[19:20], v[6:7], v[2:3]
	v_fma_f64 v[6:7], v[27:28], v[19:20], v[21:22]
	v_fma_f64 v[0:1], -v[27:28], v[19:20], v[0:1]
	ds_write2_b64 v40, v[6:7], v[4:5] offset1:1
	ds_write_b128 v11, v[0:3] offset:2560
	ds_read_b128 v[0:3], v39
	ds_read_b128 v[4:7], v11 offset:2304
	s_waitcnt lgkmcnt(0)
	v_add_f64 v[18:19], v[0:1], -v[4:5]
	v_add_f64 v[20:21], v[2:3], v[6:7]
	v_add_f64 v[2:3], v[2:3], -v[6:7]
	v_add_f64 v[0:1], v[0:1], v[4:5]
	v_mul_f64 v[6:7], v[18:19], 0.5
	v_mul_f64 v[18:19], v[20:21], 0.5
	;; [unrolled: 1-line block ×3, first 2 shown]
	s_waitcnt vmcnt(1)
	v_mul_f64 v[4:5], v[6:7], v[25:26]
	v_fma_f64 v[20:21], v[18:19], v[25:26], v[2:3]
	v_fma_f64 v[2:3], v[18:19], v[25:26], -v[2:3]
	v_fma_f64 v[25:26], v[0:1], 0.5, v[4:5]
	v_fma_f64 v[0:1], v[0:1], 0.5, -v[4:5]
	v_fma_f64 v[4:5], -v[23:24], v[6:7], v[20:21]
	v_fma_f64 v[2:3], -v[23:24], v[6:7], v[2:3]
	v_fma_f64 v[6:7], v[18:19], v[23:24], v[25:26]
	v_fma_f64 v[0:1], -v[18:19], v[23:24], v[0:1]
	ds_write2_b64 v39, v[6:7], v[4:5] offset1:1
	ds_write_b128 v11, v[0:3] offset:2304
	ds_read_b128 v[0:3], v41
	ds_read_b128 v[4:7], v11 offset:2048
	s_waitcnt lgkmcnt(0)
	v_add_f64 v[18:19], v[0:1], -v[4:5]
	v_add_f64 v[20:21], v[2:3], v[6:7]
	v_add_f64 v[2:3], v[2:3], -v[6:7]
	v_add_f64 v[0:1], v[0:1], v[4:5]
	v_mul_f64 v[6:7], v[18:19], 0.5
	v_mul_f64 v[18:19], v[20:21], 0.5
	;; [unrolled: 1-line block ×3, first 2 shown]
	s_waitcnt vmcnt(0)
	v_mul_f64 v[4:5], v[6:7], v[16:17]
	v_fma_f64 v[20:21], v[18:19], v[16:17], v[2:3]
	v_fma_f64 v[2:3], v[18:19], v[16:17], -v[2:3]
	v_fma_f64 v[16:17], v[0:1], 0.5, v[4:5]
	v_fma_f64 v[0:1], v[0:1], 0.5, -v[4:5]
	v_fma_f64 v[4:5], -v[14:15], v[6:7], v[20:21]
	v_fma_f64 v[2:3], -v[14:15], v[6:7], v[2:3]
	v_fma_f64 v[6:7], v[18:19], v[14:15], v[16:17]
	v_fma_f64 v[0:1], -v[18:19], v[14:15], v[0:1]
	ds_write2_b64 v41, v[6:7], v[4:5] offset1:1
	ds_write_b128 v11, v[0:3] offset:2048
	s_waitcnt lgkmcnt(0)
	s_barrier
	buffer_gl0_inv
	s_and_saveexec_b32 s0, vcc_lo
	s_cbranch_execz .LBB0_20
; %bb.18:
	v_mul_lo_u32 v0, s3, v12
	v_mul_lo_u32 v3, s2, v13
	v_mad_u64_u32 v[1:2], null, s2, v12, 0
	v_mov_b32_e32 v11, 0
	v_lshlrev_b64 v[7:8], 4, v[8:9]
	v_add_nc_u32_e32 v16, 16, v10
	v_add_nc_u32_e32 v28, 0x50, v10
	;; [unrolled: 1-line block ×3, first 2 shown]
	v_mov_b32_e32 v17, v11
	v_add3_u32 v2, v2, v3, v0
	v_lshl_add_u32 v0, v10, 4, v34
	v_lshlrev_b64 v[18:19], 4, v[10:11]
	ds_read_b128 v[3:6], v0
	ds_read_b128 v[12:15], v0 offset:256
	v_lshlrev_b64 v[1:2], 4, v[1:2]
	v_mov_b32_e32 v29, v11
	v_mov_b32_e32 v31, v11
	v_add_co_u32 v1, vcc_lo, s10, v1
	v_add_co_ci_u32_e32 v2, vcc_lo, s11, v2, vcc_lo
	v_lshlrev_b64 v[28:29], 4, v[28:29]
	v_add_co_u32 v1, vcc_lo, v1, v7
	v_add_co_ci_u32_e32 v2, vcc_lo, v2, v8, vcc_lo
	v_lshlrev_b64 v[7:8], 4, v[16:17]
	v_add_co_u32 v16, vcc_lo, v1, v18
	v_add_co_ci_u32_e32 v17, vcc_lo, v2, v19, vcc_lo
	v_add_nc_u32_e32 v18, 32, v10
	v_add_co_u32 v7, vcc_lo, v1, v7
	v_mov_b32_e32 v19, v11
	v_add_co_ci_u32_e32 v8, vcc_lo, v2, v8, vcc_lo
	s_waitcnt lgkmcnt(1)
	global_store_dwordx4 v[16:17], v[3:6], off
	s_waitcnt lgkmcnt(0)
	global_store_dwordx4 v[7:8], v[12:15], off
	v_lshlrev_b64 v[3:4], 4, v[18:19]
	v_add_nc_u32_e32 v16, 64, v10
	v_mov_b32_e32 v17, v11
	v_add_nc_u32_e32 v7, 48, v10
	v_mov_b32_e32 v8, v11
	v_add_co_u32 v24, vcc_lo, v1, v3
	v_add_co_ci_u32_e32 v25, vcc_lo, v2, v4, vcc_lo
	ds_read_b128 v[3:6], v0 offset:512
	ds_read_b128 v[12:15], v0 offset:768
	v_lshlrev_b64 v[26:27], 4, v[16:17]
	ds_read_b128 v[16:19], v0 offset:1024
	ds_read_b128 v[20:23], v0 offset:1280
	v_lshlrev_b64 v[7:8], 4, v[7:8]
	v_add_co_u32 v7, vcc_lo, v1, v7
	v_add_co_ci_u32_e32 v8, vcc_lo, v2, v8, vcc_lo
	v_add_co_u32 v26, vcc_lo, v1, v26
	v_add_co_ci_u32_e32 v27, vcc_lo, v2, v27, vcc_lo
	v_add_co_u32 v28, vcc_lo, v1, v28
	v_add_co_ci_u32_e32 v29, vcc_lo, v2, v29, vcc_lo
	s_waitcnt lgkmcnt(3)
	global_store_dwordx4 v[24:25], v[3:6], off
	s_waitcnt lgkmcnt(2)
	global_store_dwordx4 v[7:8], v[12:15], off
	;; [unrolled: 2-line block ×4, first 2 shown]
	v_lshlrev_b64 v[3:4], 4, v[30:31]
	v_add_nc_u32_e32 v16, 0x80, v10
	v_mov_b32_e32 v17, v11
	v_add_nc_u32_e32 v7, 0x70, v10
	v_mov_b32_e32 v8, v11
	v_add_nc_u32_e32 v28, 0x90, v10
	v_add_co_u32 v24, vcc_lo, v1, v3
	v_add_co_ci_u32_e32 v25, vcc_lo, v2, v4, vcc_lo
	ds_read_b128 v[3:6], v0 offset:1536
	ds_read_b128 v[12:15], v0 offset:1792
	v_lshlrev_b64 v[26:27], 4, v[16:17]
	ds_read_b128 v[16:19], v0 offset:2048
	ds_read_b128 v[20:23], v0 offset:2304
	v_lshlrev_b64 v[7:8], 4, v[7:8]
	v_mov_b32_e32 v29, v11
	v_add_nc_u32_e32 v30, 0xa0, v10
	v_add_co_u32 v7, vcc_lo, v1, v7
	v_lshlrev_b64 v[28:29], 4, v[28:29]
	v_add_co_ci_u32_e32 v8, vcc_lo, v2, v8, vcc_lo
	v_add_co_u32 v26, vcc_lo, v1, v26
	v_add_co_ci_u32_e32 v27, vcc_lo, v2, v27, vcc_lo
	v_add_co_u32 v28, vcc_lo, v1, v28
	v_add_co_ci_u32_e32 v29, vcc_lo, v2, v29, vcc_lo
	s_waitcnt lgkmcnt(3)
	global_store_dwordx4 v[24:25], v[3:6], off
	s_waitcnt lgkmcnt(2)
	global_store_dwordx4 v[7:8], v[12:15], off
	;; [unrolled: 2-line block ×4, first 2 shown]
	v_lshlrev_b64 v[3:4], 4, v[30:31]
	v_add_nc_u32_e32 v7, 0xb0, v10
	v_mov_b32_e32 v8, v11
	v_add_nc_u32_e32 v16, 0xc0, v10
	v_mov_b32_e32 v17, v11
	v_add_nc_u32_e32 v28, 0xd0, v10
	v_add_co_u32 v24, vcc_lo, v1, v3
	v_add_co_ci_u32_e32 v25, vcc_lo, v2, v4, vcc_lo
	ds_read_b128 v[3:6], v0 offset:2560
	ds_read_b128 v[12:15], v0 offset:2816
	v_lshlrev_b64 v[7:8], 4, v[7:8]
	v_lshlrev_b64 v[26:27], 4, v[16:17]
	ds_read_b128 v[16:19], v0 offset:3072
	ds_read_b128 v[20:23], v0 offset:3328
	v_mov_b32_e32 v29, v11
	v_add_co_u32 v7, vcc_lo, v1, v7
	v_lshlrev_b64 v[28:29], 4, v[28:29]
	v_add_co_ci_u32_e32 v8, vcc_lo, v2, v8, vcc_lo
	v_add_co_u32 v26, vcc_lo, v1, v26
	v_add_co_ci_u32_e32 v27, vcc_lo, v2, v27, vcc_lo
	v_add_co_u32 v28, vcc_lo, v1, v28
	v_add_co_ci_u32_e32 v29, vcc_lo, v2, v29, vcc_lo
	v_cmp_eq_u32_e32 vcc_lo, 15, v10
	s_waitcnt lgkmcnt(3)
	global_store_dwordx4 v[24:25], v[3:6], off
	s_waitcnt lgkmcnt(2)
	global_store_dwordx4 v[7:8], v[12:15], off
	;; [unrolled: 2-line block ×4, first 2 shown]
	s_and_b32 exec_lo, exec_lo, vcc_lo
	s_cbranch_execz .LBB0_20
; %bb.19:
	ds_read_b128 v[3:6], v0 offset:3344
	v_add_co_u32 v0, vcc_lo, 0x800, v1
	v_add_co_ci_u32_e32 v1, vcc_lo, 0, v2, vcc_lo
	s_waitcnt lgkmcnt(0)
	global_store_dwordx4 v[0:1], v[3:6], off offset:1536
.LBB0_20:
	s_endpgm
	.section	.rodata,"a",@progbits
	.p2align	6, 0x0
	.amdhsa_kernel fft_rtc_back_len224_factors_7_2_2_2_2_2_wgs_64_tpt_16_halfLds_dp_op_CI_CI_unitstride_sbrr_R2C_dirReg
		.amdhsa_group_segment_fixed_size 0
		.amdhsa_private_segment_fixed_size 0
		.amdhsa_kernarg_size 104
		.amdhsa_user_sgpr_count 6
		.amdhsa_user_sgpr_private_segment_buffer 1
		.amdhsa_user_sgpr_dispatch_ptr 0
		.amdhsa_user_sgpr_queue_ptr 0
		.amdhsa_user_sgpr_kernarg_segment_ptr 1
		.amdhsa_user_sgpr_dispatch_id 0
		.amdhsa_user_sgpr_flat_scratch_init 0
		.amdhsa_user_sgpr_private_segment_size 0
		.amdhsa_wavefront_size32 1
		.amdhsa_uses_dynamic_stack 0
		.amdhsa_system_sgpr_private_segment_wavefront_offset 0
		.amdhsa_system_sgpr_workgroup_id_x 1
		.amdhsa_system_sgpr_workgroup_id_y 0
		.amdhsa_system_sgpr_workgroup_id_z 0
		.amdhsa_system_sgpr_workgroup_info 0
		.amdhsa_system_vgpr_workitem_id 0
		.amdhsa_next_free_vgpr 114
		.amdhsa_next_free_sgpr 27
		.amdhsa_reserve_vcc 1
		.amdhsa_reserve_flat_scratch 0
		.amdhsa_float_round_mode_32 0
		.amdhsa_float_round_mode_16_64 0
		.amdhsa_float_denorm_mode_32 3
		.amdhsa_float_denorm_mode_16_64 3
		.amdhsa_dx10_clamp 1
		.amdhsa_ieee_mode 1
		.amdhsa_fp16_overflow 0
		.amdhsa_workgroup_processor_mode 1
		.amdhsa_memory_ordered 1
		.amdhsa_forward_progress 0
		.amdhsa_shared_vgpr_count 0
		.amdhsa_exception_fp_ieee_invalid_op 0
		.amdhsa_exception_fp_denorm_src 0
		.amdhsa_exception_fp_ieee_div_zero 0
		.amdhsa_exception_fp_ieee_overflow 0
		.amdhsa_exception_fp_ieee_underflow 0
		.amdhsa_exception_fp_ieee_inexact 0
		.amdhsa_exception_int_div_zero 0
	.end_amdhsa_kernel
	.text
.Lfunc_end0:
	.size	fft_rtc_back_len224_factors_7_2_2_2_2_2_wgs_64_tpt_16_halfLds_dp_op_CI_CI_unitstride_sbrr_R2C_dirReg, .Lfunc_end0-fft_rtc_back_len224_factors_7_2_2_2_2_2_wgs_64_tpt_16_halfLds_dp_op_CI_CI_unitstride_sbrr_R2C_dirReg
                                        ; -- End function
	.section	.AMDGPU.csdata,"",@progbits
; Kernel info:
; codeLenInByte = 11976
; NumSgprs: 29
; NumVgprs: 114
; ScratchSize: 0
; MemoryBound: 0
; FloatMode: 240
; IeeeMode: 1
; LDSByteSize: 0 bytes/workgroup (compile time only)
; SGPRBlocks: 3
; VGPRBlocks: 14
; NumSGPRsForWavesPerEU: 29
; NumVGPRsForWavesPerEU: 114
; Occupancy: 8
; WaveLimiterHint : 1
; COMPUTE_PGM_RSRC2:SCRATCH_EN: 0
; COMPUTE_PGM_RSRC2:USER_SGPR: 6
; COMPUTE_PGM_RSRC2:TRAP_HANDLER: 0
; COMPUTE_PGM_RSRC2:TGID_X_EN: 1
; COMPUTE_PGM_RSRC2:TGID_Y_EN: 0
; COMPUTE_PGM_RSRC2:TGID_Z_EN: 0
; COMPUTE_PGM_RSRC2:TIDIG_COMP_CNT: 0
	.text
	.p2alignl 6, 3214868480
	.fill 48, 4, 3214868480
	.type	__hip_cuid_a3a886ff78bc8a55,@object ; @__hip_cuid_a3a886ff78bc8a55
	.section	.bss,"aw",@nobits
	.globl	__hip_cuid_a3a886ff78bc8a55
__hip_cuid_a3a886ff78bc8a55:
	.byte	0                               ; 0x0
	.size	__hip_cuid_a3a886ff78bc8a55, 1

	.ident	"AMD clang version 19.0.0git (https://github.com/RadeonOpenCompute/llvm-project roc-6.4.0 25133 c7fe45cf4b819c5991fe208aaa96edf142730f1d)"
	.section	".note.GNU-stack","",@progbits
	.addrsig
	.addrsig_sym __hip_cuid_a3a886ff78bc8a55
	.amdgpu_metadata
---
amdhsa.kernels:
  - .args:
      - .actual_access:  read_only
        .address_space:  global
        .offset:         0
        .size:           8
        .value_kind:     global_buffer
      - .offset:         8
        .size:           8
        .value_kind:     by_value
      - .actual_access:  read_only
        .address_space:  global
        .offset:         16
        .size:           8
        .value_kind:     global_buffer
      - .actual_access:  read_only
        .address_space:  global
        .offset:         24
        .size:           8
        .value_kind:     global_buffer
      - .actual_access:  read_only
        .address_space:  global
        .offset:         32
        .size:           8
        .value_kind:     global_buffer
      - .offset:         40
        .size:           8
        .value_kind:     by_value
      - .actual_access:  read_only
        .address_space:  global
        .offset:         48
        .size:           8
        .value_kind:     global_buffer
      - .actual_access:  read_only
        .address_space:  global
        .offset:         56
        .size:           8
        .value_kind:     global_buffer
      - .offset:         64
        .size:           4
        .value_kind:     by_value
      - .actual_access:  read_only
        .address_space:  global
        .offset:         72
        .size:           8
        .value_kind:     global_buffer
      - .actual_access:  read_only
        .address_space:  global
        .offset:         80
        .size:           8
        .value_kind:     global_buffer
      - .actual_access:  read_only
        .address_space:  global
        .offset:         88
        .size:           8
        .value_kind:     global_buffer
      - .actual_access:  write_only
        .address_space:  global
        .offset:         96
        .size:           8
        .value_kind:     global_buffer
    .group_segment_fixed_size: 0
    .kernarg_segment_align: 8
    .kernarg_segment_size: 104
    .language:       OpenCL C
    .language_version:
      - 2
      - 0
    .max_flat_workgroup_size: 64
    .name:           fft_rtc_back_len224_factors_7_2_2_2_2_2_wgs_64_tpt_16_halfLds_dp_op_CI_CI_unitstride_sbrr_R2C_dirReg
    .private_segment_fixed_size: 0
    .sgpr_count:     29
    .sgpr_spill_count: 0
    .symbol:         fft_rtc_back_len224_factors_7_2_2_2_2_2_wgs_64_tpt_16_halfLds_dp_op_CI_CI_unitstride_sbrr_R2C_dirReg.kd
    .uniform_work_group_size: 1
    .uses_dynamic_stack: false
    .vgpr_count:     114
    .vgpr_spill_count: 0
    .wavefront_size: 32
    .workgroup_processor_mode: 1
amdhsa.target:   amdgcn-amd-amdhsa--gfx1030
amdhsa.version:
  - 1
  - 2
...

	.end_amdgpu_metadata
